;; amdgpu-corpus repo=ROCm/rocFFT kind=compiled arch=gfx1201 opt=O3
	.text
	.amdgcn_target "amdgcn-amd-amdhsa--gfx1201"
	.amdhsa_code_object_version 6
	.protected	fft_rtc_back_len3000_factors_10_3_10_10_wgs_100_tpt_100_halfLds_dp_op_CI_CI_unitstride_sbrr_R2C_dirReg ; -- Begin function fft_rtc_back_len3000_factors_10_3_10_10_wgs_100_tpt_100_halfLds_dp_op_CI_CI_unitstride_sbrr_R2C_dirReg
	.globl	fft_rtc_back_len3000_factors_10_3_10_10_wgs_100_tpt_100_halfLds_dp_op_CI_CI_unitstride_sbrr_R2C_dirReg
	.p2align	8
	.type	fft_rtc_back_len3000_factors_10_3_10_10_wgs_100_tpt_100_halfLds_dp_op_CI_CI_unitstride_sbrr_R2C_dirReg,@function
fft_rtc_back_len3000_factors_10_3_10_10_wgs_100_tpt_100_halfLds_dp_op_CI_CI_unitstride_sbrr_R2C_dirReg: ; @fft_rtc_back_len3000_factors_10_3_10_10_wgs_100_tpt_100_halfLds_dp_op_CI_CI_unitstride_sbrr_R2C_dirReg
; %bb.0:
	s_clause 0x2
	s_load_b128 s[8:11], s[0:1], 0x0
	s_load_b128 s[4:7], s[0:1], 0x58
	;; [unrolled: 1-line block ×3, first 2 shown]
	v_mul_u32_u24_e32 v1, 0x290, v0
	v_mov_b32_e32 v3, 0
	s_delay_alu instid0(VALU_DEP_2) | instskip(NEXT) | instid1(VALU_DEP_1)
	v_lshrrev_b32_e32 v1, 16, v1
	v_add_nc_u32_e32 v5, ttmp9, v1
	v_mov_b32_e32 v1, 0
	v_mov_b32_e32 v2, 0
	;; [unrolled: 1-line block ×3, first 2 shown]
	s_wait_kmcnt 0x0
	v_cmp_lt_u64_e64 s2, s[10:11], 2
	s_delay_alu instid0(VALU_DEP_1)
	s_and_b32 vcc_lo, exec_lo, s2
	s_cbranch_vccnz .LBB0_8
; %bb.1:
	s_load_b64 s[2:3], s[0:1], 0x10
	v_mov_b32_e32 v1, 0
	v_mov_b32_e32 v2, 0
	s_add_nc_u64 s[16:17], s[14:15], 8
	s_add_nc_u64 s[18:19], s[12:13], 8
	s_mov_b64 s[20:21], 1
	s_delay_alu instid0(VALU_DEP_1)
	v_dual_mov_b32 v109, v2 :: v_dual_mov_b32 v108, v1
	s_wait_kmcnt 0x0
	s_add_nc_u64 s[22:23], s[2:3], 8
	s_mov_b32 s3, 0
.LBB0_2:                                ; =>This Inner Loop Header: Depth=1
	s_load_b64 s[24:25], s[22:23], 0x0
                                        ; implicit-def: $vgpr110_vgpr111
	s_mov_b32 s2, exec_lo
	s_wait_kmcnt 0x0
	v_or_b32_e32 v4, s25, v6
	s_delay_alu instid0(VALU_DEP_1)
	v_cmpx_ne_u64_e32 0, v[3:4]
	s_wait_alu 0xfffe
	s_xor_b32 s26, exec_lo, s2
	s_cbranch_execz .LBB0_4
; %bb.3:                                ;   in Loop: Header=BB0_2 Depth=1
	s_cvt_f32_u32 s2, s24
	s_cvt_f32_u32 s27, s25
	s_sub_nc_u64 s[30:31], 0, s[24:25]
	s_wait_alu 0xfffe
	s_delay_alu instid0(SALU_CYCLE_1) | instskip(SKIP_1) | instid1(SALU_CYCLE_2)
	s_fmamk_f32 s2, s27, 0x4f800000, s2
	s_wait_alu 0xfffe
	v_s_rcp_f32 s2, s2
	s_delay_alu instid0(TRANS32_DEP_1) | instskip(SKIP_1) | instid1(SALU_CYCLE_2)
	s_mul_f32 s2, s2, 0x5f7ffffc
	s_wait_alu 0xfffe
	s_mul_f32 s27, s2, 0x2f800000
	s_wait_alu 0xfffe
	s_delay_alu instid0(SALU_CYCLE_2) | instskip(SKIP_1) | instid1(SALU_CYCLE_2)
	s_trunc_f32 s27, s27
	s_wait_alu 0xfffe
	s_fmamk_f32 s2, s27, 0xcf800000, s2
	s_cvt_u32_f32 s29, s27
	s_wait_alu 0xfffe
	s_delay_alu instid0(SALU_CYCLE_1) | instskip(SKIP_1) | instid1(SALU_CYCLE_2)
	s_cvt_u32_f32 s28, s2
	s_wait_alu 0xfffe
	s_mul_u64 s[34:35], s[30:31], s[28:29]
	s_wait_alu 0xfffe
	s_mul_hi_u32 s37, s28, s35
	s_mul_i32 s36, s28, s35
	s_mul_hi_u32 s2, s28, s34
	s_mul_i32 s33, s29, s34
	s_wait_alu 0xfffe
	s_add_nc_u64 s[36:37], s[2:3], s[36:37]
	s_mul_hi_u32 s27, s29, s34
	s_mul_hi_u32 s38, s29, s35
	s_add_co_u32 s2, s36, s33
	s_wait_alu 0xfffe
	s_add_co_ci_u32 s2, s37, s27
	s_mul_i32 s34, s29, s35
	s_add_co_ci_u32 s35, s38, 0
	s_wait_alu 0xfffe
	s_add_nc_u64 s[34:35], s[2:3], s[34:35]
	s_wait_alu 0xfffe
	v_add_co_u32 v4, s2, s28, s34
	s_delay_alu instid0(VALU_DEP_1) | instskip(SKIP_1) | instid1(VALU_DEP_1)
	s_cmp_lg_u32 s2, 0
	s_add_co_ci_u32 s29, s29, s35
	v_readfirstlane_b32 s28, v4
	s_wait_alu 0xfffe
	s_delay_alu instid0(VALU_DEP_1)
	s_mul_u64 s[30:31], s[30:31], s[28:29]
	s_wait_alu 0xfffe
	s_mul_hi_u32 s35, s28, s31
	s_mul_i32 s34, s28, s31
	s_mul_hi_u32 s2, s28, s30
	s_mul_i32 s33, s29, s30
	s_wait_alu 0xfffe
	s_add_nc_u64 s[34:35], s[2:3], s[34:35]
	s_mul_hi_u32 s27, s29, s30
	s_mul_hi_u32 s28, s29, s31
	s_wait_alu 0xfffe
	s_add_co_u32 s2, s34, s33
	s_add_co_ci_u32 s2, s35, s27
	s_mul_i32 s30, s29, s31
	s_add_co_ci_u32 s31, s28, 0
	s_wait_alu 0xfffe
	s_add_nc_u64 s[30:31], s[2:3], s[30:31]
	s_wait_alu 0xfffe
	v_add_co_u32 v4, s2, v4, s30
	s_delay_alu instid0(VALU_DEP_1) | instskip(SKIP_1) | instid1(VALU_DEP_1)
	s_cmp_lg_u32 s2, 0
	s_add_co_ci_u32 s2, s29, s31
	v_mul_hi_u32 v13, v5, v4
	s_wait_alu 0xfffe
	v_mad_co_u64_u32 v[7:8], null, v5, s2, 0
	v_mad_co_u64_u32 v[9:10], null, v6, v4, 0
	;; [unrolled: 1-line block ×3, first 2 shown]
	s_delay_alu instid0(VALU_DEP_3) | instskip(SKIP_1) | instid1(VALU_DEP_4)
	v_add_co_u32 v4, vcc_lo, v13, v7
	s_wait_alu 0xfffd
	v_add_co_ci_u32_e32 v7, vcc_lo, 0, v8, vcc_lo
	s_delay_alu instid0(VALU_DEP_2) | instskip(SKIP_1) | instid1(VALU_DEP_2)
	v_add_co_u32 v4, vcc_lo, v4, v9
	s_wait_alu 0xfffd
	v_add_co_ci_u32_e32 v4, vcc_lo, v7, v10, vcc_lo
	s_wait_alu 0xfffd
	v_add_co_ci_u32_e32 v7, vcc_lo, 0, v12, vcc_lo
	s_delay_alu instid0(VALU_DEP_2) | instskip(SKIP_1) | instid1(VALU_DEP_2)
	v_add_co_u32 v4, vcc_lo, v4, v11
	s_wait_alu 0xfffd
	v_add_co_ci_u32_e32 v9, vcc_lo, 0, v7, vcc_lo
	s_delay_alu instid0(VALU_DEP_2) | instskip(SKIP_1) | instid1(VALU_DEP_3)
	v_mul_lo_u32 v10, s25, v4
	v_mad_co_u64_u32 v[7:8], null, s24, v4, 0
	v_mul_lo_u32 v11, s24, v9
	s_delay_alu instid0(VALU_DEP_2) | instskip(NEXT) | instid1(VALU_DEP_2)
	v_sub_co_u32 v7, vcc_lo, v5, v7
	v_add3_u32 v8, v8, v11, v10
	s_delay_alu instid0(VALU_DEP_1) | instskip(SKIP_1) | instid1(VALU_DEP_1)
	v_sub_nc_u32_e32 v10, v6, v8
	s_wait_alu 0xfffd
	v_subrev_co_ci_u32_e64 v10, s2, s25, v10, vcc_lo
	v_add_co_u32 v11, s2, v4, 2
	s_wait_alu 0xf1ff
	v_add_co_ci_u32_e64 v12, s2, 0, v9, s2
	v_sub_co_u32 v13, s2, v7, s24
	v_sub_co_ci_u32_e32 v8, vcc_lo, v6, v8, vcc_lo
	s_wait_alu 0xf1ff
	v_subrev_co_ci_u32_e64 v10, s2, 0, v10, s2
	s_delay_alu instid0(VALU_DEP_3) | instskip(NEXT) | instid1(VALU_DEP_3)
	v_cmp_le_u32_e32 vcc_lo, s24, v13
	v_cmp_eq_u32_e64 s2, s25, v8
	s_wait_alu 0xfffd
	v_cndmask_b32_e64 v13, 0, -1, vcc_lo
	v_cmp_le_u32_e32 vcc_lo, s25, v10
	s_wait_alu 0xfffd
	v_cndmask_b32_e64 v14, 0, -1, vcc_lo
	v_cmp_le_u32_e32 vcc_lo, s24, v7
	;; [unrolled: 3-line block ×3, first 2 shown]
	s_wait_alu 0xfffd
	v_cndmask_b32_e64 v15, 0, -1, vcc_lo
	v_cmp_eq_u32_e32 vcc_lo, s25, v10
	s_wait_alu 0xf1ff
	s_delay_alu instid0(VALU_DEP_2)
	v_cndmask_b32_e64 v7, v15, v7, s2
	s_wait_alu 0xfffd
	v_cndmask_b32_e32 v10, v14, v13, vcc_lo
	v_add_co_u32 v13, vcc_lo, v4, 1
	s_wait_alu 0xfffd
	v_add_co_ci_u32_e32 v14, vcc_lo, 0, v9, vcc_lo
	s_delay_alu instid0(VALU_DEP_3) | instskip(SKIP_1) | instid1(VALU_DEP_2)
	v_cmp_ne_u32_e32 vcc_lo, 0, v10
	s_wait_alu 0xfffd
	v_cndmask_b32_e32 v8, v14, v12, vcc_lo
	v_cndmask_b32_e32 v10, v13, v11, vcc_lo
	v_cmp_ne_u32_e32 vcc_lo, 0, v7
	s_wait_alu 0xfffd
	s_delay_alu instid0(VALU_DEP_2)
	v_dual_cndmask_b32 v111, v9, v8 :: v_dual_cndmask_b32 v110, v4, v10
.LBB0_4:                                ;   in Loop: Header=BB0_2 Depth=1
	s_wait_alu 0xfffe
	s_and_not1_saveexec_b32 s2, s26
	s_cbranch_execz .LBB0_6
; %bb.5:                                ;   in Loop: Header=BB0_2 Depth=1
	v_cvt_f32_u32_e32 v4, s24
	s_sub_co_i32 s26, 0, s24
	v_mov_b32_e32 v111, v3
	s_delay_alu instid0(VALU_DEP_2) | instskip(NEXT) | instid1(TRANS32_DEP_1)
	v_rcp_iflag_f32_e32 v4, v4
	v_mul_f32_e32 v4, 0x4f7ffffe, v4
	s_delay_alu instid0(VALU_DEP_1) | instskip(SKIP_1) | instid1(VALU_DEP_1)
	v_cvt_u32_f32_e32 v4, v4
	s_wait_alu 0xfffe
	v_mul_lo_u32 v7, s26, v4
	s_delay_alu instid0(VALU_DEP_1) | instskip(NEXT) | instid1(VALU_DEP_1)
	v_mul_hi_u32 v7, v4, v7
	v_add_nc_u32_e32 v4, v4, v7
	s_delay_alu instid0(VALU_DEP_1) | instskip(NEXT) | instid1(VALU_DEP_1)
	v_mul_hi_u32 v4, v5, v4
	v_mul_lo_u32 v7, v4, s24
	v_add_nc_u32_e32 v8, 1, v4
	s_delay_alu instid0(VALU_DEP_2) | instskip(NEXT) | instid1(VALU_DEP_1)
	v_sub_nc_u32_e32 v7, v5, v7
	v_subrev_nc_u32_e32 v9, s24, v7
	v_cmp_le_u32_e32 vcc_lo, s24, v7
	s_wait_alu 0xfffd
	s_delay_alu instid0(VALU_DEP_2) | instskip(NEXT) | instid1(VALU_DEP_1)
	v_dual_cndmask_b32 v7, v7, v9 :: v_dual_cndmask_b32 v4, v4, v8
	v_cmp_le_u32_e32 vcc_lo, s24, v7
	s_delay_alu instid0(VALU_DEP_2) | instskip(SKIP_1) | instid1(VALU_DEP_1)
	v_add_nc_u32_e32 v8, 1, v4
	s_wait_alu 0xfffd
	v_cndmask_b32_e32 v110, v4, v8, vcc_lo
.LBB0_6:                                ;   in Loop: Header=BB0_2 Depth=1
	s_wait_alu 0xfffe
	s_or_b32 exec_lo, exec_lo, s2
	v_mul_lo_u32 v4, v111, s24
	s_delay_alu instid0(VALU_DEP_2)
	v_mul_lo_u32 v9, v110, s25
	s_load_b64 s[26:27], s[18:19], 0x0
	v_mad_co_u64_u32 v[7:8], null, v110, s24, 0
	s_load_b64 s[24:25], s[16:17], 0x0
	s_add_nc_u64 s[20:21], s[20:21], 1
	s_add_nc_u64 s[16:17], s[16:17], 8
	s_wait_alu 0xfffe
	v_cmp_ge_u64_e64 s2, s[20:21], s[10:11]
	s_add_nc_u64 s[18:19], s[18:19], 8
	s_add_nc_u64 s[22:23], s[22:23], 8
	v_add3_u32 v4, v8, v9, v4
	v_sub_co_u32 v5, vcc_lo, v5, v7
	s_wait_alu 0xfffd
	s_delay_alu instid0(VALU_DEP_2) | instskip(SKIP_2) | instid1(VALU_DEP_1)
	v_sub_co_ci_u32_e32 v4, vcc_lo, v6, v4, vcc_lo
	s_and_b32 vcc_lo, exec_lo, s2
	s_wait_kmcnt 0x0
	v_mul_lo_u32 v6, s26, v4
	v_mul_lo_u32 v7, s27, v5
	v_mad_co_u64_u32 v[1:2], null, s26, v5, v[1:2]
	v_mul_lo_u32 v4, s24, v4
	v_mul_lo_u32 v8, s25, v5
	v_mad_co_u64_u32 v[108:109], null, s24, v5, v[108:109]
	s_delay_alu instid0(VALU_DEP_4) | instskip(NEXT) | instid1(VALU_DEP_2)
	v_add3_u32 v2, v7, v2, v6
	v_add3_u32 v109, v8, v109, v4
	s_wait_alu 0xfffe
	s_cbranch_vccnz .LBB0_9
; %bb.7:                                ;   in Loop: Header=BB0_2 Depth=1
	v_dual_mov_b32 v5, v110 :: v_dual_mov_b32 v6, v111
	s_branch .LBB0_2
.LBB0_8:
	v_dual_mov_b32 v109, v2 :: v_dual_mov_b32 v108, v1
	v_dual_mov_b32 v111, v6 :: v_dual_mov_b32 v110, v5
.LBB0_9:
	s_load_b64 s[0:1], s[0:1], 0x28
	v_mul_hi_u32 v3, 0x28f5c29, v0
	s_lshl_b64 s[10:11], s[10:11], 3
                                        ; implicit-def: $vgpr104
                                        ; implicit-def: $vgpr106
                                        ; implicit-def: $vgpr119
                                        ; implicit-def: $vgpr118
                                        ; implicit-def: $vgpr117
                                        ; implicit-def: $vgpr116
                                        ; implicit-def: $vgpr115
                                        ; implicit-def: $vgpr114
                                        ; implicit-def: $vgpr113
                                        ; implicit-def: $vgpr112
	s_wait_kmcnt 0x0
	v_cmp_gt_u64_e32 vcc_lo, s[0:1], v[110:111]
	v_cmp_le_u64_e64 s0, s[0:1], v[110:111]
	s_delay_alu instid0(VALU_DEP_1)
	s_and_saveexec_b32 s1, s0
	s_wait_alu 0xfffe
	s_xor_b32 s0, exec_lo, s1
; %bb.10:
	v_mul_u32_u24_e32 v1, 0x64, v3
                                        ; implicit-def: $vgpr3
	s_delay_alu instid0(VALU_DEP_1) | instskip(NEXT) | instid1(VALU_DEP_1)
	v_sub_nc_u32_e32 v104, v0, v1
                                        ; implicit-def: $vgpr0
                                        ; implicit-def: $vgpr1_vgpr2
	v_add_nc_u32_e32 v106, 0x64, v104
	v_add_nc_u32_e32 v119, 0xc8, v104
	;; [unrolled: 1-line block ×9, first 2 shown]
; %bb.11:
	s_wait_alu 0xfffe
	s_or_saveexec_b32 s1, s0
	s_add_nc_u64 s[2:3], s[14:15], s[10:11]
	s_wait_alu 0xfffe
	s_xor_b32 exec_lo, exec_lo, s1
	s_cbranch_execz .LBB0_13
; %bb.12:
	s_add_nc_u64 s[10:11], s[12:13], s[10:11]
	v_lshlrev_b64_e32 v[1:2], 4, v[1:2]
	s_load_b64 s[10:11], s[10:11], 0x0
	s_wait_kmcnt 0x0
	v_mul_lo_u32 v6, s11, v110
	v_mul_lo_u32 v7, s10, v111
	v_mad_co_u64_u32 v[4:5], null, s10, v110, 0
	s_delay_alu instid0(VALU_DEP_1) | instskip(SKIP_1) | instid1(VALU_DEP_2)
	v_add3_u32 v5, v5, v7, v6
	v_mul_u32_u24_e32 v6, 0x64, v3
	v_lshlrev_b64_e32 v[3:4], 4, v[4:5]
	s_delay_alu instid0(VALU_DEP_2) | instskip(NEXT) | instid1(VALU_DEP_1)
	v_sub_nc_u32_e32 v104, v0, v6
	v_lshlrev_b32_e32 v107, 4, v104
	s_delay_alu instid0(VALU_DEP_3) | instskip(SKIP_1) | instid1(VALU_DEP_4)
	v_add_co_u32 v0, s0, s4, v3
	s_wait_alu 0xf1ff
	v_add_co_ci_u32_e64 v3, s0, s5, v4, s0
	v_add_nc_u32_e32 v119, 0xc8, v104
	s_delay_alu instid0(VALU_DEP_3) | instskip(SKIP_1) | instid1(VALU_DEP_3)
	v_add_co_u32 v0, s0, v0, v1
	s_wait_alu 0xf1ff
	v_add_co_ci_u32_e64 v1, s0, v3, v2, s0
	v_add_nc_u32_e32 v118, 0x12c, v104
	s_delay_alu instid0(VALU_DEP_3) | instskip(SKIP_1) | instid1(VALU_DEP_3)
	v_add_co_u32 v105, s0, v0, v107
	s_wait_alu 0xf1ff
	v_add_co_ci_u32_e64 v106, s0, 0, v1, s0
	s_clause 0x1d
	global_load_b128 v[0:3], v[105:106], off offset:1600
	global_load_b128 v[4:7], v[105:106], off offset:3200
	;; [unrolled: 1-line block ×28, first 2 shown]
	global_load_b128 v[128:131], v[105:106], off
	global_load_b128 v[132:135], v[105:106], off offset:46400
	v_add_nc_u32_e32 v106, 0x64, v104
	v_add_nc_u32_e32 v117, 0x190, v104
	;; [unrolled: 1-line block ×8, first 2 shown]
	s_wait_loadcnt 0x1d
	ds_store_b128 v105, v[0:3] offset:1600
	s_wait_loadcnt 0x1c
	ds_store_b128 v105, v[4:7] offset:3200
	;; [unrolled: 2-line block ×28, first 2 shown]
	s_wait_loadcnt 0x1
	ds_store_b128 v105, v[128:131]
	s_wait_loadcnt 0x0
	ds_store_b128 v105, v[132:135] offset:46400
.LBB0_13:
	s_or_b32 exec_lo, exec_lo, s1
	v_lshlrev_b32_e32 v105, 4, v104
	s_load_b64 s[2:3], s[2:3], 0x0
	global_wb scope:SCOPE_SE
	s_wait_dscnt 0x0
	s_wait_kmcnt 0x0
	s_barrier_signal -1
	s_barrier_wait -1
	v_add_nc_u32_e32 v196, 0, v105
	global_inv scope:SCOPE_SE
	s_mov_b32 s22, 0x134454ff
	s_mov_b32 s23, 0xbfee6f0e
	;; [unrolled: 1-line block ×3, first 2 shown]
	ds_load_b128 v[24:27], v196 offset:33600
	ds_load_b128 v[32:35], v196 offset:24000
	;; [unrolled: 1-line block ×11, first 2 shown]
	ds_load_b128 v[72:75], v196
	ds_load_b128 v[4:7], v196 offset:46400
	ds_load_b128 v[68:71], v196 offset:19200
	;; [unrolled: 1-line block ×10, first 2 shown]
	s_mov_b32 s12, s22
	s_mov_b32 s20, 0x4755a5e
	;; [unrolled: 1-line block ×4, first 2 shown]
	s_wait_alu 0xfffe
	s_mov_b32 s10, s20
	s_mov_b32 s4, 0x372fe950
	;; [unrolled: 1-line block ×4, first 2 shown]
	s_wait_alu 0xfffe
	s_mov_b32 s16, s4
	s_wait_dscnt 0xa
	v_add_f64_e32 v[172:173], v[72:73], v[84:85]
	v_add_f64_e32 v[174:175], v[74:75], v[86:87]
	s_wait_dscnt 0x8
	v_add_f64_e64 v[180:181], v[84:85], -v[68:69]
	v_add_f64_e32 v[80:81], v[34:35], v[26:27]
	v_add_f64_e32 v[88:89], v[32:33], v[24:25]
	;; [unrolled: 1-line block ×3, first 2 shown]
	v_add_f64_e64 v[136:137], v[40:41], -v[8:9]
	v_add_f64_e64 v[140:141], v[32:33], -v[24:25]
	;; [unrolled: 1-line block ×3, first 2 shown]
	v_add_f64_e32 v[146:147], v[40:41], v[8:9]
	s_wait_dscnt 0x4
	v_add_f64_e32 v[150:151], v[84:85], v[44:45]
	v_add_f64_e32 v[152:153], v[86:87], v[46:47]
	;; [unrolled: 1-line block ×4, first 2 shown]
	v_add_f64_e64 v[158:159], v[34:35], -v[26:27]
	v_add_f64_e64 v[160:161], v[40:41], -v[32:33]
	;; [unrolled: 1-line block ×7, first 2 shown]
	v_add_f64_e32 v[178:179], v[76:77], v[40:41]
	v_add_f64_e32 v[42:43], v[78:79], v[42:43]
	s_wait_dscnt 0x2
	v_add_f64_e32 v[221:222], v[52:53], v[56:57]
	v_add_f64_e32 v[223:224], v[54:55], v[58:59]
	v_add_f64_e64 v[176:177], v[86:87], -v[46:47]
	v_add_f64_e64 v[184:185], v[68:69], -v[84:85]
	;; [unrolled: 1-line block ×12, first 2 shown]
	s_mov_b32 s18, 0x9b97f4a8
	v_add_f64_e32 v[68:69], v[172:173], v[68:69]
	v_add_f64_e32 v[172:173], v[58:59], v[2:3]
	s_mov_b32 s19, 0x3fe9e377
	v_fma_f64 v[138:139], v[80:81], -0.5, v[78:79]
	v_fma_f64 v[144:145], v[88:89], -0.5, v[76:77]
	;; [unrolled: 1-line block ×3, first 2 shown]
	ds_load_b128 v[100:103], v196 offset:11200
	ds_load_b128 v[80:83], v196 offset:12800
	;; [unrolled: 1-line block ×8, first 2 shown]
	v_add_f64_e64 v[78:79], v[70:71], -v[50:51]
	v_fma_f64 v[76:77], v[146:147], -0.5, v[76:77]
	v_fma_f64 v[150:151], v[150:151], -0.5, v[72:73]
	;; [unrolled: 1-line block ×5, first 2 shown]
	v_add_f64_e32 v[156:157], v[62:63], v[30:31]
	v_add_f64_e32 v[70:71], v[174:175], v[70:71]
	;; [unrolled: 1-line block ×3, first 2 shown]
	s_mov_b32 s15, 0xbfe9e377
	v_add_f64_e32 v[160:161], v[160:161], v[166:167]
	v_add_f64_e32 v[162:163], v[162:163], v[168:169]
	;; [unrolled: 1-line block ×6, first 2 shown]
	s_wait_dscnt 0x3
	v_add_f64_e32 v[209:210], v[120:121], v[128:129]
	v_add_f64_e32 v[192:193], v[96:97], v[100:101]
	;; [unrolled: 1-line block ×3, first 2 shown]
	v_add_f64_e64 v[40:41], v[122:123], -v[130:131]
	v_add_f64_e64 v[211:212], v[100:101], -v[120:121]
	;; [unrolled: 1-line block ×3, first 2 shown]
	v_add_f64_e32 v[215:216], v[122:123], v[130:131]
	v_add_f64_e64 v[217:218], v[102:103], -v[122:123]
	v_add_f64_e64 v[219:220], v[122:123], -v[102:103]
	s_wait_dscnt 0x1
	v_add_f64_e64 v[225:226], v[102:103], -v[134:135]
	v_add_f64_e32 v[102:103], v[102:103], v[134:135]
	v_add_f64_e64 v[229:230], v[120:121], -v[128:129]
	v_add_f64_e64 v[154:155], v[132:133], -v[128:129]
	;; [unrolled: 1-line block ×4, first 2 shown]
	v_add_f64_e32 v[48:49], v[68:69], v[48:49]
	v_add_f64_e32 v[86:87], v[86:87], v[207:208]
	v_fma_f64 v[194:195], v[136:137], s[12:13], v[138:139]
	v_fma_f64 v[201:202], v[142:143], s[22:23], v[144:145]
	v_fma_f64 v[146:147], v[140:141], s[22:23], v[148:149]
	v_fma_f64 v[148:149], v[140:141], s[12:13], v[148:149]
	v_fma_f64 v[138:139], v[136:137], s[22:23], v[138:139]
	v_add_f64_e32 v[180:181], v[180:181], v[182:183]
	v_fma_f64 v[178:179], v[158:159], s[12:13], v[76:77]
	v_fma_f64 v[42:43], v[158:159], s[22:23], v[76:77]
	v_add_f64_e64 v[76:77], v[62:63], -v[30:31]
	v_add_f64_e32 v[182:183], v[22:23], v[14:15]
	s_mov_b32 s14, s18
	v_add_f64_e32 v[227:228], v[100:101], v[132:133]
	v_add_f64_e32 v[50:51], v[70:71], v[50:51]
	;; [unrolled: 1-line block ×5, first 2 shown]
	v_add_f64_e64 v[68:69], v[2:3], -v[30:31]
	v_fma_f64 v[168:169], v[168:169], -0.5, v[52:53]
	v_add_f64_e32 v[233:234], v[124:125], v[88:89]
	v_add_f64_e32 v[24:25], v[32:33], v[24:25]
	;; [unrolled: 1-line block ×3, first 2 shown]
	v_fma_f64 v[32:33], v[176:177], s[12:13], v[72:73]
	v_add_f64_e32 v[120:121], v[192:193], v[120:121]
	v_add_f64_e32 v[122:123], v[197:198], v[122:123]
	v_add_f64_e64 v[192:193], v[60:61], -v[28:29]
	v_add_f64_e64 v[197:198], v[58:59], -v[62:63]
	;; [unrolled: 1-line block ×7, first 2 shown]
	v_mul_u32_u24_e32 v107, 10, v104
	global_wb scope:SCOPE_SE
	s_wait_dscnt 0x0
	v_add_f64_e32 v[154:155], v[211:212], v[154:155]
	v_add_f64_e32 v[166:167], v[213:214], v[166:167]
	s_barrier_signal -1
	v_add_f64_e32 v[48:49], v[48:49], v[44:45]
	v_add_f64_e32 v[44:45], v[16:17], v[4:5]
	v_fma_f64 v[194:195], v[140:141], s[10:11], v[194:195]
	v_fma_f64 v[170:171], v[158:159], s[20:21], v[201:202]
	;; [unrolled: 1-line block ×4, first 2 shown]
	v_add_f64_e64 v[148:149], v[56:57], -v[60:61]
	v_add_f64_e64 v[201:202], v[60:61], -v[56:57]
	v_add_f64_e32 v[60:61], v[221:222], v[60:61]
	v_add_f64_e32 v[221:222], v[223:224], v[62:63]
	v_add_f64_e64 v[62:63], v[62:63], -v[58:59]
	v_add_f64_e64 v[223:224], v[58:59], -v[2:3]
	v_fma_f64 v[58:59], v[142:143], s[12:13], v[144:145]
	v_add_f64_e64 v[144:145], v[56:57], -v[0:1]
	v_fma_f64 v[56:57], v[140:141], s[20:21], v[138:139]
	v_add_f64_e32 v[140:141], v[199:200], v[203:204]
	v_fma_f64 v[203:204], v[209:210], -0.5, v[96:97]
	v_fma_f64 v[209:210], v[215:216], -0.5, v[98:99]
	;; [unrolled: 1-line block ×5, first 2 shown]
	v_fma_f64 v[156:157], v[78:79], s[12:13], v[150:151]
	v_fma_f64 v[150:151], v[78:79], s[22:23], v[150:151]
	v_fma_f64 v[172:173], v[174:175], -0.5, v[52:53]
	v_fma_f64 v[52:53], v[176:177], s[22:23], v[72:73]
	v_fma_f64 v[215:216], v[188:189], s[22:23], v[152:153]
	;; [unrolled: 1-line block ×5, first 2 shown]
	v_add_f64_e64 v[138:139], v[130:131], -v[134:135]
	v_add_f64_e32 v[199:200], v[64:65], v[80:81]
	v_add_f64_e32 v[120:121], v[120:121], v[128:129]
	;; [unrolled: 1-line block ×3, first 2 shown]
	v_fma_f64 v[32:33], v[78:79], s[10:11], v[32:33]
	v_add_f64_e32 v[142:143], v[66:67], v[82:83]
	v_add_f64_e64 v[72:73], v[80:81], -v[124:125]
	v_add_f64_e32 v[50:51], v[50:51], v[46:47]
	v_add_f64_e32 v[46:47], v[36:37], v[16:17]
	v_add_f64_e32 v[8:9], v[24:25], v[8:9]
	v_add_f64_e32 v[10:11], v[26:27], v[10:11]
	v_fma_f64 v[174:175], v[162:163], s[4:5], v[194:195]
	v_fma_f64 v[194:195], v[84:85], s[12:13], v[74:75]
	;; [unrolled: 1-line block ×5, first 2 shown]
	v_add_f64_e64 v[164:165], v[0:1], -v[28:29]
	v_fma_f64 v[182:183], v[182:183], -0.5, v[38:39]
	v_fma_f64 v[186:187], v[186:187], -0.5, v[36:37]
	;; [unrolled: 1-line block ×3, first 2 shown]
	v_add_f64_e64 v[227:228], v[28:29], -v[0:1]
	v_fma_f64 v[34:35], v[158:159], s[10:11], v[58:59]
	v_fma_f64 v[58:59], v[84:85], s[22:23], v[74:75]
	;; [unrolled: 1-line block ×3, first 2 shown]
	v_add_f64_e64 v[74:75], v[124:125], -v[80:81]
	v_add_f64_e64 v[162:163], v[124:125], -v[88:89]
	v_add_f64_e32 v[158:159], v[126:127], v[90:91]
	v_fma_f64 v[36:37], v[44:45], -0.5, v[36:37]
	v_add_f64_e32 v[243:244], v[60:61], v[28:29]
	v_add_f64_e32 v[221:222], v[221:222], v[30:31]
	v_fma_f64 v[156:157], v[176:177], s[20:21], v[156:157]
	v_fma_f64 v[150:151], v[176:177], s[10:11], v[150:151]
	;; [unrolled: 1-line block ×8, first 2 shown]
	v_add_f64_e32 v[152:153], v[18:19], v[6:7]
	v_add_f64_e32 v[124:125], v[199:200], v[124:125]
	v_add_f64_e64 v[199:200], v[30:31], -v[2:3]
	v_fma_f64 v[215:216], v[192:193], s[12:13], v[54:55]
	v_fma_f64 v[32:33], v[180:181], s[4:5], v[32:33]
	v_add_f64_e32 v[142:143], v[142:143], v[126:127]
	v_add_f64_e64 v[126:127], v[126:127], -v[82:83]
	v_add_f64_e32 v[120:121], v[120:121], v[132:133]
	v_add_f64_e32 v[241:242], v[46:47], v[20:21]
	v_add_f64_e32 v[122:123], v[122:123], v[134:135]
	v_add_f64_e32 v[44:45], v[50:51], v[10:11]
	v_mul_f64_e32 v[128:129], s[20:21], v[174:175]
	v_fma_f64 v[130:131], v[188:189], s[10:11], v[194:195]
	v_mul_f64_e32 v[176:177], s[10:11], v[170:171]
	v_mul_f64_e32 v[194:195], s[22:23], v[146:147]
	;; [unrolled: 1-line block ×5, first 2 shown]
	v_add_f64_e32 v[148:149], v[148:149], v[164:165]
	v_fma_f64 v[164:165], v[192:193], s[22:23], v[54:55]
	v_fma_f64 v[245:246], v[207:208], s[12:13], v[182:183]
	;; [unrolled: 1-line block ×4, first 2 shown]
	v_mul_f64_e32 v[78:79], s[20:21], v[56:57]
	v_add_f64_e32 v[160:161], v[38:39], v[18:19]
	v_add_f64_e64 v[188:189], v[18:19], -v[6:7]
	v_mul_f64_e32 v[56:57], s[14:15], v[56:57]
	v_add_f64_e64 v[46:47], v[48:49], -v[8:9]
	v_fma_f64 v[158:159], v[158:159], -0.5, v[66:67]
	v_add_f64_e32 v[138:139], v[219:220], v[138:139]
	v_fma_f64 v[24:25], v[70:71], s[4:5], v[156:157]
	v_fma_f64 v[70:71], v[70:71], s[4:5], v[150:151]
	v_add_f64_e64 v[150:151], v[82:83], -v[94:95]
	v_fma_f64 v[156:157], v[180:181], s[4:5], v[52:53]
	v_fma_f64 v[180:181], v[144:145], s[12:13], v[102:103]
	v_fma_f64 v[102:103], v[144:145], s[22:23], v[102:103]
	v_fma_f64 v[84:85], v[86:87], s[4:5], v[84:85]
	v_add_f64_e32 v[82:83], v[82:83], v[94:95]
	v_fma_f64 v[38:39], v[152:153], -0.5, v[38:39]
	v_add_f64_e64 v[152:153], v[4:5], -v[12:13]
	v_add_f64_e32 v[62:63], v[62:63], v[199:200]
	v_fma_f64 v[134:135], v[144:145], s[20:21], v[215:216]
	v_add_f64_e32 v[124:125], v[124:125], v[88:89]
	v_add_f64_e32 v[142:143], v[142:143], v[90:91]
	v_add_f64_e32 v[0:1], v[243:244], v[0:1]
	v_add_f64_e32 v[2:3], v[221:222], v[2:3]
	s_barrier_wait -1
	global_inv scope:SCOPE_SE
	v_lshl_add_u32 v200, v118, 4, 0
	v_fma_f64 v[26:27], v[170:171], s[18:19], v[128:129]
	v_fma_f64 v[130:131], v[184:185], s[4:5], v[130:131]
	;; [unrolled: 1-line block ×6, first 2 shown]
	v_add_f64_e64 v[178:179], v[20:21], -v[12:13]
	v_fma_f64 v[86:87], v[42:43], s[16:17], v[140:141]
	v_fma_f64 v[136:137], v[42:43], s[12:13], v[136:137]
	v_add_f64_e64 v[128:129], v[22:23], -v[14:15]
	v_add_f64_e64 v[174:175], v[16:17], -v[20:21]
	v_add_f64_e64 v[140:141], v[18:19], -v[22:23]
	v_fma_f64 v[78:79], v[34:35], s[14:15], v[78:79]
	v_add_f64_e64 v[18:19], v[22:23], -v[18:19]
	v_add_f64_e64 v[194:195], v[6:7], -v[14:15]
	v_fma_f64 v[184:185], v[184:185], s[4:5], v[58:59]
	v_fma_f64 v[247:248], v[188:189], s[22:23], v[186:187]
	v_add_f64_e32 v[42:43], v[48:49], v[8:9]
	v_add_f64_e64 v[48:49], v[50:51], -v[10:11]
	v_fma_f64 v[132:133], v[144:145], s[10:11], v[164:165]
	v_fma_f64 v[34:35], v[34:35], s[10:11], v[56:57]
	v_add_f64_e32 v[22:23], v[160:161], v[22:23]
	v_fma_f64 v[144:145], v[76:77], s[20:21], v[237:238]
	v_fma_f64 v[160:161], v[76:77], s[22:23], v[168:169]
	v_add_f64_e64 v[16:17], v[20:21], -v[16:17]
	v_add_f64_e32 v[20:21], v[241:242], v[12:13]
	v_fma_f64 v[102:103], v[192:193], s[20:21], v[102:103]
	v_add_f64_e64 v[12:13], v[12:13], -v[4:5]
	v_fma_f64 v[66:67], v[82:83], -0.5, v[66:67]
	v_add_f64_e32 v[164:165], v[217:218], v[231:232]
	s_mov_b32 s0, 0xe8584caa
	s_mov_b32 s1, 0xbfebb67a
	;; [unrolled: 1-line block ×3, first 2 shown]
	s_wait_alu 0xfffe
	s_mov_b32 s24, s0
	v_lshl_add_u32 v199, v112, 4, 0
	v_add_f64_e32 v[50:51], v[156:157], v[26:27]
	v_add_f64_e64 v[8:9], v[156:157], -v[26:27]
	v_add_f64_e32 v[52:53], v[130:131], v[170:171]
	v_add_f64_e64 v[10:11], v[130:131], -v[170:171]
	v_add_f64_e32 v[130:131], v[197:198], v[68:69]
	v_add_f64_e32 v[56:57], v[176:177], v[146:147]
	v_add_f64_e64 v[26:27], v[176:177], -v[146:147]
	v_add_f64_e32 v[58:59], v[70:71], v[86:87]
	v_add_f64_e32 v[60:61], v[84:85], v[136:137]
	v_add_f64_e64 v[28:29], v[70:71], -v[86:87]
	v_add_f64_e64 v[30:31], v[84:85], -v[136:137]
	v_fma_f64 v[84:85], v[178:179], s[22:23], v[38:39]
	v_add_f64_e32 v[86:87], v[80:81], v[92:93]
	v_fma_f64 v[38:39], v[178:179], s[12:13], v[38:39]
	v_add_f64_e32 v[68:69], v[32:33], v[78:79]
	v_add_f64_e64 v[32:33], v[32:33], -v[78:79]
	v_fma_f64 v[78:79], v[207:208], s[22:23], v[182:183]
	v_fma_f64 v[136:137], v[192:193], s[10:11], v[180:181]
	v_add_f64_e64 v[80:81], v[80:81], -v[92:93]
	v_fma_f64 v[146:147], v[76:77], s[12:13], v[168:169]
	v_fma_f64 v[170:171], v[223:224], s[12:13], v[172:173]
	v_fma_f64 v[172:173], v[233:234], -0.5, v[64:65]
	v_add_f64_e32 v[152:153], v[174:175], v[152:153]
	v_add_f64_e32 v[140:141], v[140:141], v[194:195]
	v_fma_f64 v[174:175], v[178:179], s[10:11], v[245:246]
	v_fma_f64 v[176:177], v[128:129], s[20:21], v[247:248]
	v_add_f64_e32 v[18:19], v[18:19], v[239:240]
	v_fma_f64 v[180:181], v[128:129], s[12:13], v[36:37]
	v_fma_f64 v[132:133], v[62:63], s[4:5], v[132:133]
	;; [unrolled: 1-line block ×4, first 2 shown]
	v_add_f64_e32 v[70:71], v[184:185], v[34:35]
	v_add_f64_e64 v[34:35], v[184:185], -v[34:35]
	v_fma_f64 v[156:157], v[40:41], s[12:13], v[96:97]
	v_fma_f64 v[96:97], v[40:41], s[22:23], v[96:97]
	v_add_f64_e32 v[168:169], v[201:202], v[227:228]
	v_add_f64_e32 v[14:15], v[22:23], v[14:15]
	v_fma_f64 v[82:83], v[148:149], s[4:5], v[144:145]
	v_fma_f64 v[144:145], v[100:101], s[12:13], v[209:210]
	;; [unrolled: 1-line block ×4, first 2 shown]
	v_add_f64_e64 v[184:185], v[92:93], -v[88:89]
	v_fma_f64 v[186:187], v[100:101], s[22:23], v[209:210]
	v_add_f64_e64 v[88:89], v[88:89], -v[92:93]
	v_fma_f64 v[102:103], v[130:131], s[4:5], v[102:103]
	v_add_f64_e32 v[12:13], v[16:17], v[12:13]
	v_add_f64_e32 v[92:93], v[124:125], v[92:93]
	;; [unrolled: 1-line block ×4, first 2 shown]
	v_fma_f64 v[84:85], v[207:208], s[10:11], v[84:85]
	v_fma_f64 v[64:65], v[86:87], -0.5, v[64:65]
	v_fma_f64 v[38:39], v[207:208], s[20:21], v[38:39]
	v_fma_f64 v[86:87], v[128:129], s[22:23], v[36:37]
	v_add_f64_e64 v[24:25], v[24:25], -v[190:191]
	v_fma_f64 v[78:79], v[178:179], s[20:21], v[78:79]
	v_fma_f64 v[22:23], v[130:131], s[4:5], v[136:137]
	;; [unrolled: 1-line block ×7, first 2 shown]
	v_add_f64_e64 v[130:131], v[94:95], -v[90:91]
	v_add_f64_e64 v[90:91], v[90:91], -v[94:95]
	v_fma_f64 v[170:171], v[140:141], s[4:5], v[174:175]
	v_fma_f64 v[174:175], v[152:153], s[4:5], v[176:177]
	;; [unrolled: 1-line block ×10, first 2 shown]
	v_add_f64_e32 v[94:95], v[142:143], v[94:95]
	v_add_f64_e32 v[6:7], v[14:15], v[6:7]
	v_lshl_add_u32 v36, v107, 4, 0
	v_fma_f64 v[144:145], v[229:230], s[10:11], v[144:145]
	v_fma_f64 v[160:161], v[168:169], s[4:5], v[160:161]
	ds_store_b128 v36, v[42:45]
	ds_store_b128 v36, v[50:53] offset:16
	ds_store_b128 v36, v[54:57] offset:32
	ds_store_b128 v36, v[58:61] offset:48
	ds_store_b128 v36, v[68:71] offset:64
	ds_store_b128 v36, v[46:49] offset:80
	v_add_f64_e32 v[72:73], v[72:73], v[184:185]
	v_add_f64_e32 v[74:75], v[74:75], v[88:89]
	v_fma_f64 v[84:85], v[18:19], s[4:5], v[84:85]
	v_add_f64_e64 v[43:44], v[122:123], -v[2:3]
	v_fma_f64 v[18:19], v[18:19], s[4:5], v[38:39]
	v_fma_f64 v[37:38], v[235:236], s[12:13], v[64:65]
	;; [unrolled: 1-line block ×7, first 2 shown]
	v_mul_f64_e32 v[134:135], s[20:21], v[22:23]
	v_mul_f64_e32 v[140:141], s[10:11], v[82:83]
	v_fma_f64 v[136:137], v[40:41], s[20:21], v[136:137]
	v_fma_f64 v[146:147], v[168:169], s[4:5], v[146:147]
	;; [unrolled: 1-line block ×4, first 2 shown]
	v_mul_f64_e32 v[100:101], s[22:23], v[132:133]
	v_mul_f64_e32 v[132:133], s[4:5], v[132:133]
	;; [unrolled: 1-line block ×4, first 2 shown]
	v_fma_f64 v[39:40], v[40:41], s[10:11], v[182:183]
	v_fma_f64 v[182:183], v[229:230], s[20:21], v[186:187]
	;; [unrolled: 1-line block ×3, first 2 shown]
	v_mul_f64_e32 v[148:149], s[20:21], v[102:103]
	v_mul_f64_e32 v[102:103], s[14:15], v[102:103]
	v_add_f64_e32 v[130:131], v[205:206], v[130:131]
	v_mul_f64_e32 v[186:187], s[10:11], v[174:175]
	v_fma_f64 v[16:17], v[162:163], s[10:11], v[16:17]
	v_add_f64_e32 v[88:89], v[126:127], v[90:91]
	v_fma_f64 v[90:91], v[12:13], s[4:5], v[180:181]
	v_fma_f64 v[128:129], v[152:153], s[4:5], v[128:129]
	v_mul_f64_e32 v[184:185], s[20:21], v[170:171]
	v_fma_f64 v[176:177], v[235:236], s[20:21], v[176:177]
	v_fma_f64 v[96:97], v[166:167], s[4:5], v[96:97]
	v_add_f64_e64 v[41:42], v[120:121], -v[0:1]
	ds_store_b128 v36, v[8:11] offset:96
	ds_store_b128 v36, v[24:27] offset:112
	;; [unrolled: 1-line block ×4, first 2 shown]
	v_mul_i32_i24_e32 v9, 10, v119
	v_and_b32_e32 v25, 0xffff, v117
	v_and_b32_e32 v29, 0xffff, v116
	v_mul_f64_e32 v[126:127], s[22:23], v[84:85]
	v_mul_f64_e32 v[84:85], s[4:5], v[84:85]
	v_lshl_add_u32 v198, v9, 4, 0
	v_fma_f64 v[37:38], v[150:151], s[20:21], v[37:38]
	v_fma_f64 v[12:13], v[12:13], s[4:5], v[86:87]
	;; [unrolled: 1-line block ×6, first 2 shown]
	v_mul_f64_e32 v[152:153], s[20:21], v[78:79]
	v_mul_f64_e32 v[78:79], s[14:15], v[78:79]
	v_fma_f64 v[66:67], v[80:81], s[20:21], v[66:67]
	v_mul_f64_e32 v[80:81], s[22:23], v[18:19]
	v_mul_f64_e32 v[18:19], s[16:17], v[18:19]
	v_fma_f64 v[82:83], v[82:83], s[18:19], v[134:135]
	v_fma_f64 v[22:23], v[22:23], s[18:19], v[140:141]
	v_fma_f64 v[134:135], v[154:155], s[4:5], v[136:137]
	v_fma_f64 v[136:137], v[164:165], s[4:5], v[144:145]
	v_fma_f64 v[100:101], v[146:147], s[4:5], v[100:101]
	v_fma_f64 v[132:133], v[146:147], s[12:13], v[132:133]
	v_fma_f64 v[140:141], v[166:167], s[4:5], v[156:157]
	v_fma_f64 v[144:145], v[138:139], s[4:5], v[178:179]
	v_fma_f64 v[98:99], v[138:139], s[4:5], v[98:99]
	v_fma_f64 v[138:139], v[160:161], s[16:17], v[168:169]
	v_fma_f64 v[146:147], v[160:161], s[12:13], v[62:63]
	v_fma_f64 v[14:15], v[154:155], s[4:5], v[39:40]
	v_fma_f64 v[20:21], v[164:165], s[4:5], v[182:183]
	v_fma_f64 v[124:125], v[76:77], s[14:15], v[148:149]
	v_fma_f64 v[76:77], v[76:77], s[10:11], v[102:103]
	v_fma_f64 v[142:143], v[170:171], s[18:19], v[186:187]
	v_fma_f64 v[154:155], v[130:131], s[4:5], v[16:17]
	v_fma_f64 v[102:103], v[174:175], s[18:19], v[184:185]
	v_fma_f64 v[148:149], v[72:73], s[4:5], v[176:177]
	v_add_f64_e32 v[39:40], v[122:123], v[2:3]
	v_add_f64_e64 v[2:3], v[94:95], -v[6:7]
	v_and_b32_e32 v122, 0xff, v104
	v_mul_u32_u24_e32 v32, 0xcccd, v29
	v_mad_i32_i24 v107, 0xffffff70, v119, v198
	v_fma_f64 v[126:127], v[90:91], s[4:5], v[126:127]
	v_fma_f64 v[156:157], v[90:91], s[12:13], v[84:85]
	v_mul_lo_u16 v8, 0xcd, v122
	v_fma_f64 v[158:159], v[74:75], s[4:5], v[37:38]
	v_add_f64_e32 v[37:38], v[120:121], v[0:1]
	v_fma_f64 v[160:161], v[88:89], s[4:5], v[180:181]
	v_fma_f64 v[162:163], v[74:75], s[4:5], v[64:65]
	v_fma_f64 v[170:171], v[72:73], s[4:5], v[86:87]
	v_fma_f64 v[130:131], v[130:131], s[4:5], v[150:151]
	v_fma_f64 v[150:151], v[128:129], s[14:15], v[152:153]
	v_fma_f64 v[128:129], v[128:129], s[10:11], v[78:79]
	v_fma_f64 v[164:165], v[88:89], s[4:5], v[66:67]
	v_fma_f64 v[166:167], v[12:13], s[16:17], v[80:81]
	v_fma_f64 v[168:169], v[12:13], s[12:13], v[18:19]
	v_add_f64_e32 v[79:80], v[94:95], v[6:7]
	v_add_f64_e64 v[0:1], v[92:93], -v[4:5]
	v_add_f64_e64 v[49:50], v[134:135], -v[82:83]
	;; [unrolled: 1-line block ×3, first 2 shown]
	v_add_f64_e32 v[45:46], v[134:135], v[82:83]
	v_add_f64_e32 v[47:48], v[136:137], v[22:23]
	;; [unrolled: 1-line block ×4, first 2 shown]
	v_add_f64_e64 v[57:58], v[140:141], -v[100:101]
	v_add_f64_e64 v[65:66], v[96:97], -v[138:139]
	;; [unrolled: 1-line block ×4, first 2 shown]
	v_add_f64_e32 v[61:62], v[96:97], v[138:139]
	v_add_f64_e32 v[69:70], v[14:15], v[124:125]
	;; [unrolled: 1-line block ×3, first 2 shown]
	v_add_f64_e64 v[75:76], v[20:21], -v[76:77]
	v_add_f64_e32 v[77:78], v[92:93], v[4:5]
	v_add_f64_e32 v[63:64], v[98:99], v[146:147]
	v_add_f64_e64 v[73:74], v[14:15], -v[124:125]
	v_add_f64_e32 v[81:82], v[148:149], v[102:103]
	v_add_f64_e32 v[83:84], v[154:155], v[142:143]
	v_add_f64_e64 v[4:5], v[148:149], -v[102:103]
	v_add_f64_e64 v[6:7], v[154:155], -v[142:143]
	v_lshrrev_b16 v134, 11, v8
	v_mul_i32_i24_e32 v97, 10, v106
	v_and_b32_e32 v121, 0xff, v106
	v_and_b32_e32 v120, 0xffff, v119
	v_add_f64_e32 v[85:86], v[158:159], v[126:127]
	v_add_f64_e64 v[12:13], v[158:159], -v[126:127]
	v_add_f64_e32 v[87:88], v[160:161], v[156:157]
	v_add_f64_e64 v[14:15], v[160:161], -v[156:157]
	v_mul_lo_u16 v8, v134, 10
	v_lshl_add_u32 v197, v97, 4, 0
	v_add_f64_e32 v[16:17], v[170:171], v[150:151]
	v_add_f64_e32 v[18:19], v[130:131], v[128:129]
	v_add_f64_e64 v[93:94], v[170:171], -v[150:151]
	v_add_f64_e32 v[89:90], v[162:163], v[166:167]
	v_add_f64_e32 v[91:92], v[164:165], v[168:169]
	v_add_f64_e64 v[20:21], v[162:163], -v[166:167]
	v_add_f64_e64 v[22:23], v[164:165], -v[168:169]
	;; [unrolled: 1-line block ×3, first 2 shown]
	v_sub_nc_u16 v8, v104, v8
	v_mul_lo_u16 v9, 0xcd, v121
	ds_store_b128 v197, v[37:40]
	ds_store_b128 v197, v[45:48] offset:16
	ds_store_b128 v197, v[53:56] offset:32
	;; [unrolled: 1-line block ×9, first 2 shown]
	ds_store_b128 v198, v[77:80]
	ds_store_b128 v198, v[81:84] offset:16
	ds_store_b128 v198, v[85:88] offset:32
	ds_store_b128 v198, v[89:92] offset:48
	ds_store_b128 v198, v[16:19] offset:64
	ds_store_b128 v198, v[0:3] offset:80
	v_mul_u32_u24_e32 v0, 0xcccd, v120
	v_and_b32_e32 v136, 0xff, v8
	v_and_b32_e32 v8, 0xffff, v118
	v_lshrrev_b16 v137, 11, v9
	ds_store_b128 v198, v[4:7] offset:96
	ds_store_b128 v198, v[12:15] offset:112
	;; [unrolled: 1-line block ×4, first 2 shown]
	v_lshrrev_b32_e32 v138, 19, v0
	v_lshlrev_b32_e32 v1, 5, v136
	v_mul_u32_u24_e32 v8, 0xcccd, v8
	v_mul_lo_u16 v0, v137, 10
	global_wb scope:SCOPE_SE
	s_wait_dscnt 0x0
	v_mul_lo_u16 v2, v138, 10
	s_barrier_signal -1
	v_lshrrev_b32_e32 v141, 19, v8
	v_sub_nc_u16 v0, v106, v0
	s_barrier_wait -1
	v_sub_nc_u16 v9, v119, v2
	global_inv scope:SCOPE_SE
	v_mul_lo_u16 v24, v141, 10
	v_and_b32_e32 v140, 0xff, v0
	s_clause 0x1
	global_load_b128 v[4:7], v1, s[8:9]
	global_load_b128 v[0:3], v1, s[8:9] offset:16
	v_and_b32_e32 v139, 0xffff, v9
	v_lshrrev_b32_e32 v130, 19, v32
	v_sub_nc_u16 v24, v118, v24
	v_lshlrev_b32_e32 v9, 5, v140
	s_clause 0x1
	global_load_b128 v[12:15], v9, s[8:9]
	global_load_b128 v[8:11], v9, s[8:9] offset:16
	v_lshlrev_b32_e32 v20, 5, v139
	v_and_b32_e32 v142, 0xffff, v24
	v_mul_u32_u24_e32 v24, 0xcccd, v25
	s_clause 0x1
	global_load_b128 v[16:19], v20, s[8:9]
	global_load_b128 v[20:23], v20, s[8:9] offset:16
	v_lshlrev_b32_e32 v28, 5, v142
	v_lshrrev_b32_e32 v129, 19, v24
	v_and_b32_e32 v42, 0xffff, v113
	v_and_b32_e32 v181, 0xffff, v137
	v_mul_u32_u24_e32 v195, 0x1e0, v138
	global_load_b128 v[24:27], v28, s[8:9]
	v_mul_lo_u16 v33, v129, 10
	v_mul_u32_u24_e32 v215, 0x1e0, v141
	v_lshlrev_b32_e32 v216, 4, v139
	v_and_b32_e32 v134, 0xffff, v134
	v_mad_i32_i24 v206, 0xffffff70, v106, v197
	v_sub_nc_u16 v32, v117, v33
	v_mul_lo_u16 v33, v130, 10
	v_lshlrev_b32_e32 v217, 4, v142
	v_mul_u32_u24_e32 v134, 0x1e0, v134
	v_lshl_add_u32 v205, v117, 4, 0
	v_and_b32_e32 v132, 0xffff, v32
	v_sub_nc_u16 v33, v116, v33
	v_and_b32_e32 v32, 0xffff, v115
	v_lshl_add_u32 v204, v116, 4, 0
	v_lshl_add_u32 v203, v115, 4, 0
	v_lshlrev_b32_e32 v34, 5, v132
	v_and_b32_e32 v131, 0xffff, v33
	v_mul_u32_u24_e32 v32, 0xcccd, v32
	v_and_b32_e32 v33, 0xffff, v114
	v_lshl_add_u32 v201, v113, 4, 0
	s_clause 0x1
	global_load_b128 v[36:39], v34, s[8:9]
	global_load_b128 v[28:31], v28, s[8:9] offset:16
	v_lshlrev_b32_e32 v41, 5, v131
	v_lshrrev_b32_e32 v133, 19, v32
	v_mul_u32_u24_e32 v40, 0xcccd, v33
	s_clause 0x2
	global_load_b128 v[32:35], v34, s[8:9] offset:16
	global_load_b128 v[48:51], v41, s[8:9]
	global_load_b128 v[44:47], v41, s[8:9] offset:16
	v_mul_lo_u16 v43, v133, 10
	v_lshrrev_b32_e32 v123, 19, v40
	v_mul_u32_u24_e32 v40, 0xcccd, v42
	v_and_b32_e32 v41, 0xffff, v112
	v_lshl_add_u32 v202, v114, 4, 0
	v_sub_nc_u16 v42, v115, v43
	v_mul_lo_u16 v43, v123, 10
	v_lshrrev_b32_e32 v125, 19, v40
	v_mul_u32_u24_e32 v40, 0xcccd, v41
	s_delay_alu instid0(VALU_DEP_4) | instskip(NEXT) | instid1(VALU_DEP_4)
	v_and_b32_e32 v135, 0xffff, v42
	v_sub_nc_u16 v41, v114, v43
	s_delay_alu instid0(VALU_DEP_4) | instskip(NEXT) | instid1(VALU_DEP_4)
	v_mul_lo_u16 v42, v125, 10
	v_lshrrev_b32_e32 v124, 19, v40
	s_delay_alu instid0(VALU_DEP_4) | instskip(NEXT) | instid1(VALU_DEP_4)
	v_lshlrev_b32_e32 v40, 5, v135
	v_and_b32_e32 v127, 0xffff, v41
	s_delay_alu instid0(VALU_DEP_4) | instskip(NEXT) | instid1(VALU_DEP_4)
	v_sub_nc_u16 v41, v113, v42
	v_mul_lo_u16 v42, v124, 10
	s_clause 0x1
	global_load_b128 v[68:71], v40, s[8:9]
	global_load_b128 v[64:67], v40, s[8:9] offset:16
	v_and_b32_e32 v128, 0xffff, v41
	v_sub_nc_u16 v40, v112, v42
	v_lshlrev_b32_e32 v43, 5, v127
	s_delay_alu instid0(VALU_DEP_3) | instskip(NEXT) | instid1(VALU_DEP_3)
	v_lshlrev_b32_e32 v41, 5, v128
	v_and_b32_e32 v126, 0xffff, v40
	s_clause 0x2
	global_load_b128 v[72:75], v43, s[8:9]
	global_load_b128 v[76:79], v43, s[8:9] offset:16
	global_load_b128 v[60:63], v41, s[8:9]
	v_lshlrev_b32_e32 v52, 5, v126
	s_clause 0x2
	global_load_b128 v[56:59], v41, s[8:9] offset:16
	global_load_b128 v[40:43], v52, s[8:9]
	global_load_b128 v[52:55], v52, s[8:9] offset:16
	ds_load_b128 v[96:99], v196 offset:16000
	ds_load_b128 v[92:95], v196 offset:32000
	;; [unrolled: 1-line block ×6, first 2 shown]
	ds_load_b128 v[143:146], v200
	ds_load_b128 v[147:150], v196 offset:20800
	ds_load_b128 v[151:154], v196 offset:36800
	;; [unrolled: 1-line block ×4, first 2 shown]
	s_wait_loadcnt_dscnt 0x130a
	v_mul_f64_e32 v[163:164], v[98:99], v[6:7]
	v_mul_f64_e32 v[6:7], v[96:97], v[6:7]
	s_wait_loadcnt_dscnt 0x1209
	v_mul_f64_e32 v[165:166], v[94:95], v[2:3]
	v_mul_f64_e32 v[2:3], v[92:93], v[2:3]
	s_wait_loadcnt_dscnt 0x1108
	v_mul_f64_e32 v[167:168], v[86:87], v[14:15]
	s_wait_loadcnt_dscnt 0x1007
	v_mul_f64_e32 v[169:170], v[90:91], v[10:11]
	v_mul_f64_e32 v[14:15], v[84:85], v[14:15]
	;; [unrolled: 1-line block ×3, first 2 shown]
	s_wait_loadcnt_dscnt 0xf06
	v_mul_f64_e32 v[171:172], v[82:83], v[18:19]
	s_wait_loadcnt_dscnt 0xe05
	v_mul_f64_e32 v[173:174], v[102:103], v[22:23]
	v_mul_f64_e32 v[18:19], v[80:81], v[18:19]
	;; [unrolled: 1-line block ×3, first 2 shown]
	v_fma_f64 v[163:164], v[96:97], v[4:5], v[163:164]
	v_fma_f64 v[177:178], v[98:99], v[4:5], -v[6:7]
	ds_load_b128 v[4:7], v196 offset:40000
	s_wait_loadcnt_dscnt 0xd04
	v_mul_f64_e32 v[137:138], v[149:150], v[26:27]
	v_mul_f64_e32 v[26:27], v[147:148], v[26:27]
	v_fma_f64 v[165:166], v[92:93], v[0:1], v[165:166]
	s_wait_loadcnt_dscnt 0xb03
	v_mul_f64_e32 v[175:176], v[153:154], v[30:31]
	v_mul_f64_e32 v[30:31], v[151:152], v[30:31]
	v_fma_f64 v[179:180], v[94:95], v[0:1], -v[2:3]
	ds_load_b128 v[0:3], v196 offset:24000
	v_mul_u32_u24_e32 v92, 0x1e0, v181
	v_lshlrev_b32_e32 v94, 4, v140
	v_fma_f64 v[140:141], v[84:85], v[12:13], v[167:168]
	v_fma_f64 v[167:168], v[88:89], v[8:9], v[169:170]
	v_fma_f64 v[169:170], v[86:87], v[12:13], -v[14:15]
	v_fma_f64 v[181:182], v[90:91], v[8:9], -v[10:11]
	v_fma_f64 v[171:172], v[80:81], v[16:17], v[171:172]
	v_fma_f64 v[100:101], v[100:101], v[20:21], v[173:174]
	v_fma_f64 v[173:174], v[82:83], v[16:17], -v[18:19]
	v_fma_f64 v[102:103], v[102:103], v[20:21], -v[22:23]
	s_wait_dscnt 0x2
	v_mul_f64_e32 v[183:184], v[161:162], v[38:39]
	v_mul_f64_e32 v[38:39], v[159:160], v[38:39]
	s_wait_loadcnt 0xa
	v_mul_f64_e32 v[185:186], v[157:158], v[34:35]
	v_mul_f64_e32 v[34:35], v[155:156], v[34:35]
	v_lshlrev_b32_e32 v93, 4, v136
	s_wait_loadcnt_dscnt 0x801
	v_mul_f64_e32 v[189:190], v[6:7], v[46:47]
	v_mul_f64_e32 v[46:47], v[4:5], v[46:47]
	ds_load_b128 v[8:11], v196 offset:41600
	ds_load_b128 v[12:15], v196 offset:25600
	;; [unrolled: 1-line block ×3, first 2 shown]
	v_add3_u32 v218, 0, v92, v94
	s_wait_dscnt 0x3
	v_mul_f64_e32 v[187:188], v[2:3], v[50:51]
	v_mul_f64_e32 v[50:51], v[0:1], v[50:51]
	v_add3_u32 v134, 0, v134, v93
	v_fma_f64 v[136:137], v[147:148], v[24:25], v[137:138]
	v_fma_f64 v[138:139], v[149:150], v[24:25], -v[26:27]
	v_fma_f64 v[147:148], v[151:152], v[28:29], v[175:176]
	v_fma_f64 v[149:150], v[153:154], v[28:29], -v[30:31]
	v_add_f64_e32 v[151:152], v[163:164], v[165:166]
	v_add_f64_e32 v[153:154], v[177:178], v[179:180]
	ds_load_b128 v[20:23], v196 offset:43200
	ds_load_b128 v[24:27], v196 offset:44800
	;; [unrolled: 1-line block ×5, first 2 shown]
	ds_load_b128 v[88:91], v196
	ds_load_b128 v[92:95], v206
	;; [unrolled: 1-line block ×3, first 2 shown]
	s_wait_loadcnt_dscnt 0x709
	v_mul_f64_e32 v[175:176], v[14:15], v[70:71]
	v_add_f64_e32 v[191:192], v[140:141], v[167:168]
	v_mul_f64_e32 v[70:71], v[12:13], v[70:71]
	v_add_f64_e32 v[207:208], v[169:170], v[181:182]
	s_wait_loadcnt 0x6
	v_mul_f64_e32 v[193:194], v[10:11], v[66:67]
	v_add_f64_e32 v[209:210], v[171:172], v[100:101]
	v_mul_f64_e32 v[66:67], v[8:9], v[66:67]
	v_add_f64_e32 v[213:214], v[173:174], v[102:103]
	s_wait_loadcnt_dscnt 0x508
	v_mul_f64_e32 v[211:212], v[18:19], v[74:75]
	v_fma_f64 v[159:160], v[159:160], v[36:37], v[183:184]
	v_fma_f64 v[161:162], v[161:162], v[36:37], -v[38:39]
	v_mul_f64_e32 v[36:37], v[16:17], v[74:75]
	v_fma_f64 v[155:156], v[155:156], v[32:33], v[185:186]
	v_fma_f64 v[157:158], v[157:158], v[32:33], -v[34:35]
	s_wait_loadcnt_dscnt 0x407
	v_mul_f64_e32 v[38:39], v[22:23], v[78:79]
	v_mul_f64_e32 v[74:75], v[20:21], v[78:79]
	s_wait_loadcnt_dscnt 0x305
	v_mul_f64_e32 v[78:79], v[30:31], v[62:63]
	v_mul_f64_e32 v[32:33], v[28:29], v[62:63]
	v_fma_f64 v[183:184], v[0:1], v[48:49], v[187:188]
	v_fma_f64 v[185:186], v[2:3], v[48:49], -v[50:51]
	v_fma_f64 v[187:188], v[4:5], v[44:45], v[189:190]
	s_wait_loadcnt 0x2
	v_mul_f64_e32 v[34:35], v[26:27], v[58:59]
	v_mul_f64_e32 v[58:59], v[24:25], v[58:59]
	s_wait_loadcnt_dscnt 0x104
	v_mul_f64_e32 v[62:63], v[82:83], v[42:43]
	s_wait_loadcnt_dscnt 0x3
	v_mul_f64_e32 v[0:1], v[86:87], v[54:55]
	v_fma_f64 v[189:190], v[6:7], v[44:45], -v[46:47]
	s_wait_dscnt 0x2
	v_add_f64_e32 v[6:7], v[90:91], v[177:178]
	v_add_f64_e32 v[44:45], v[88:89], v[163:164]
	v_mul_f64_e32 v[42:43], v[80:81], v[42:43]
	v_mul_f64_e32 v[54:55], v[84:85], v[54:55]
	v_add_f64_e64 v[163:164], v[163:164], -v[165:166]
	v_add_f64_e32 v[2:3], v[136:137], v[147:148]
	v_add_f64_e32 v[4:5], v[138:139], v[149:150]
	v_fma_f64 v[88:89], v[151:152], -0.5, v[88:89]
	v_fma_f64 v[90:91], v[153:154], -0.5, v[90:91]
	v_add_f64_e64 v[153:154], v[177:178], -v[179:180]
	s_wait_dscnt 0x1
	v_add_f64_e32 v[46:47], v[94:95], v[169:170]
	v_add_f64_e32 v[48:49], v[92:93], v[140:141]
	v_add_f64_e64 v[169:170], v[169:170], -v[181:182]
	v_fma_f64 v[92:93], v[191:192], -0.5, v[92:93]
	v_add_f64_e64 v[140:141], v[140:141], -v[167:168]
	v_fma_f64 v[94:95], v[207:208], -0.5, v[94:95]
	s_wait_dscnt 0x0
	v_add_f64_e32 v[50:51], v[98:99], v[173:174]
	v_add_f64_e32 v[151:152], v[96:97], v[171:172]
	v_add_f64_e64 v[173:174], v[173:174], -v[102:103]
	v_fma_f64 v[96:97], v[209:210], -0.5, v[96:97]
	v_add_f64_e64 v[171:172], v[171:172], -v[100:101]
	v_fma_f64 v[98:99], v[213:214], -0.5, v[98:99]
	v_fma_f64 v[175:176], v[12:13], v[68:69], v[175:176]
	v_fma_f64 v[68:69], v[14:15], v[68:69], -v[70:71]
	v_fma_f64 v[70:71], v[8:9], v[64:65], v[193:194]
	v_fma_f64 v[177:178], v[10:11], v[64:65], -v[66:67]
	;; [unrolled: 2-line block ×5, first 2 shown]
	v_add_f64_e32 v[60:61], v[145:146], v[138:139]
	v_add_f64_e32 v[64:65], v[143:144], v[136:137]
	v_add_f64_e64 v[138:139], v[138:139], -v[149:150]
	v_add_f64_e64 v[136:137], v[136:137], -v[147:148]
	v_fma_f64 v[207:208], v[24:25], v[56:57], v[34:35]
	v_fma_f64 v[209:210], v[26:27], v[56:57], -v[58:59]
	v_fma_f64 v[80:81], v[80:81], v[40:41], v[62:63]
	v_fma_f64 v[84:85], v[84:85], v[52:53], v[0:1]
	v_add_f64_e32 v[0:1], v[44:45], v[165:166]
	v_fma_f64 v[82:83], v[82:83], v[40:41], -v[42:43]
	v_fma_f64 v[86:87], v[86:87], v[52:53], -v[54:55]
	v_fma_f64 v[142:143], v[2:3], -0.5, v[143:144]
	v_fma_f64 v[144:145], v[4:5], -0.5, v[145:146]
	v_add_f64_e32 v[2:3], v[6:7], v[179:180]
	s_wait_alu 0xfffe
	v_fma_f64 v[14:15], v[163:164], s[24:25], v[90:91]
	v_fma_f64 v[12:13], v[153:154], s[0:1], v[88:89]
	;; [unrolled: 1-line block ×4, first 2 shown]
	v_add_f64_e32 v[6:7], v[46:47], v[181:182]
	v_add_f64_e32 v[4:5], v[48:49], v[167:168]
	v_fma_f64 v[20:21], v[169:170], s[0:1], v[92:93]
	v_fma_f64 v[22:23], v[140:141], s[24:25], v[94:95]
	v_fma_f64 v[24:25], v[169:170], s[24:25], v[92:93]
	v_fma_f64 v[26:27], v[140:141], s[0:1], v[94:95]
	v_add_f64_e32 v[10:11], v[50:51], v[102:103]
	v_add_f64_e32 v[8:9], v[151:152], v[100:101]
	v_fma_f64 v[28:29], v[173:174], s[0:1], v[96:97]
	v_fma_f64 v[30:31], v[171:172], s[24:25], v[98:99]
	v_add_f64_e32 v[88:89], v[159:160], v[155:156]
	v_add_f64_e32 v[90:91], v[161:162], v[157:158]
	;; [unrolled: 1-line block ×4, first 2 shown]
	v_fma_f64 v[36:37], v[173:174], s[24:25], v[96:97]
	v_fma_f64 v[38:39], v[171:172], s[0:1], v[98:99]
	v_add_f64_e32 v[100:101], v[175:176], v[70:71]
	v_add_f64_e32 v[102:103], v[68:69], v[177:178]
	;; [unrolled: 1-line block ×3, first 2 shown]
	ds_load_b128 v[32:35], v205
	ds_load_b128 v[40:43], v204
	v_add_f64_e32 v[62:63], v[60:61], v[149:150]
	v_add_f64_e32 v[60:61], v[64:65], v[147:148]
	;; [unrolled: 1-line block ×5, first 2 shown]
	v_add3_u32 v152, 0, v195, v216
	ds_load_b128 v[44:47], v203
	ds_load_b128 v[48:51], v202
	;; [unrolled: 1-line block ×4, first 2 shown]
	global_wb scope:SCOPE_SE
	s_wait_dscnt 0x0
	s_barrier_signal -1
	v_fma_f64 v[64:65], v[138:139], s[0:1], v[142:143]
	v_fma_f64 v[66:67], v[136:137], s[24:25], v[144:145]
	s_barrier_wait -1
	global_inv scope:SCOPE_SE
	ds_store_b128 v134, v[0:3]
	ds_store_b128 v134, v[12:15] offset:160
	ds_store_b128 v134, v[16:19] offset:320
	ds_store_b128 v218, v[4:7]
	ds_store_b128 v218, v[20:23] offset:160
	ds_store_b128 v218, v[24:27] offset:320
	ds_store_b128 v152, v[8:11]
	ds_store_b128 v152, v[28:31] offset:160
	v_add_f64_e32 v[8:9], v[80:81], v[84:85]
	v_add_f64_e32 v[10:11], v[82:83], v[86:87]
	;; [unrolled: 1-line block ×4, first 2 shown]
	v_add_f64_e64 v[14:15], v[161:162], -v[157:158]
	v_add_f64_e64 v[18:19], v[159:160], -v[155:156]
	v_add_f64_e32 v[20:21], v[42:43], v[185:186]
	v_fma_f64 v[12:13], v[88:89], -0.5, v[32:33]
	v_fma_f64 v[16:17], v[90:91], -0.5, v[34:35]
	v_add_f64_e32 v[24:25], v[40:41], v[183:184]
	v_fma_f64 v[22:23], v[92:93], -0.5, v[40:41]
	v_add_f64_e64 v[26:27], v[185:186], -v[189:190]
	v_fma_f64 v[28:29], v[94:95], -0.5, v[42:43]
	v_add_f64_e64 v[30:31], v[183:184], -v[187:188]
	ds_store_b128 v152, v[36:39] offset:320
	v_add3_u32 v134, 0, v215, v217
	v_add_f64_e32 v[32:33], v[46:47], v[68:69]
	v_add_f64_e32 v[36:37], v[44:45], v[175:176]
	v_fma_f64 v[34:35], v[100:101], -0.5, v[44:45]
	v_add_f64_e64 v[38:39], v[68:69], -v[177:178]
	v_fma_f64 v[40:41], v[102:103], -0.5, v[46:47]
	v_add_f64_e64 v[42:43], v[175:176], -v[70:71]
	ds_store_b128 v134, v[60:63]
	ds_store_b128 v134, v[64:67] offset:160
	v_fma_f64 v[46:47], v[140:141], -0.5, v[48:49]
	v_add_f64_e32 v[44:45], v[50:51], v[72:73]
	v_add_f64_e32 v[48:49], v[48:49], v[191:192]
	v_add_f64_e64 v[60:61], v[72:73], -v[74:75]
	v_fma_f64 v[50:51], v[146:147], -0.5, v[50:51]
	v_add_f64_e64 v[62:63], v[191:192], -v[193:194]
	v_fma_f64 v[64:65], v[148:149], -0.5, v[52:53]
	v_add_f64_e32 v[66:67], v[54:55], v[78:79]
	v_add_f64_e32 v[52:53], v[52:53], v[76:77]
	v_add_f64_e64 v[68:69], v[78:79], -v[209:210]
	v_fma_f64 v[72:73], v[150:151], -0.5, v[54:55]
	v_add_f64_e64 v[76:77], v[76:77], -v[207:208]
	v_add_f64_e32 v[88:89], v[58:59], v[82:83]
	v_add_f64_e32 v[90:91], v[56:57], v[80:81]
	v_fma_f64 v[78:79], v[8:9], -0.5, v[56:57]
	v_add_f64_e64 v[82:83], v[82:83], -v[86:87]
	v_fma_f64 v[92:93], v[10:11], -0.5, v[58:59]
	v_add_f64_e64 v[80:81], v[80:81], -v[84:85]
	v_fma_f64 v[0:1], v[138:139], s[24:25], v[142:143]
	v_fma_f64 v[2:3], v[136:137], s[0:1], v[144:145]
	v_add_f64_e32 v[6:7], v[96:97], v[157:158]
	v_add_f64_e32 v[4:5], v[98:99], v[155:156]
	v_fma_f64 v[8:9], v[14:15], s[0:1], v[12:13]
	v_fma_f64 v[10:11], v[18:19], s[24:25], v[16:17]
	v_fma_f64 v[12:13], v[14:15], s[24:25], v[12:13]
	v_fma_f64 v[14:15], v[18:19], s[0:1], v[16:17]
	v_add_f64_e32 v[18:19], v[20:21], v[189:190]
	v_add_f64_e32 v[16:17], v[24:25], v[187:188]
	v_fma_f64 v[20:21], v[26:27], s[0:1], v[22:23]
	v_fma_f64 v[24:25], v[26:27], s[24:25], v[22:23]
	v_fma_f64 v[22:23], v[30:31], s[24:25], v[28:29]
	v_fma_f64 v[26:27], v[30:31], s[0:1], v[28:29]
	v_add_f64_e32 v[30:31], v[32:33], v[177:178]
	v_add_f64_e32 v[28:29], v[36:37], v[70:71]
	v_fma_f64 v[32:33], v[38:39], s[0:1], v[34:35]
	v_fma_f64 v[36:37], v[38:39], s[24:25], v[34:35]
	v_fma_f64 v[34:35], v[42:43], s[24:25], v[40:41]
	v_fma_f64 v[38:39], v[42:43], s[0:1], v[40:41]
	v_mul_u32_u24_e32 v54, 0x1e0, v129
	v_lshlrev_b32_e32 v55, 4, v132
	v_add_f64_e32 v[42:43], v[44:45], v[74:75]
	v_add_f64_e32 v[40:41], v[48:49], v[193:194]
	v_fma_f64 v[44:45], v[60:61], s[0:1], v[46:47]
	v_fma_f64 v[48:49], v[60:61], s[24:25], v[46:47]
	v_fma_f64 v[46:47], v[62:63], s[24:25], v[50:51]
	v_fma_f64 v[50:51], v[62:63], s[0:1], v[50:51]
	v_add3_u32 v94, 0, v54, v55
	v_add_f64_e32 v[54:55], v[66:67], v[209:210]
	v_add_f64_e32 v[52:53], v[52:53], v[207:208]
	v_fma_f64 v[60:61], v[68:69], s[24:25], v[64:65]
	v_fma_f64 v[62:63], v[76:77], s[0:1], v[72:73]
	v_fma_f64 v[56:57], v[68:69], s[0:1], v[64:65]
	v_fma_f64 v[58:59], v[76:77], s[24:25], v[72:73]
	v_add_f64_e32 v[66:67], v[88:89], v[86:87]
	v_add_f64_e32 v[64:65], v[90:91], v[84:85]
	v_fma_f64 v[68:69], v[82:83], s[0:1], v[78:79]
	v_fma_f64 v[70:71], v[80:81], s[24:25], v[92:93]
	;; [unrolled: 1-line block ×4, first 2 shown]
	v_mul_u32_u24_e32 v95, 0x1e0, v130
	v_lshlrev_b32_e32 v96, 4, v131
	ds_store_b128 v134, v[0:3] offset:320
	ds_store_b128 v94, v[4:7]
	ds_store_b128 v94, v[8:11] offset:160
	v_mul_u32_u24_e32 v1, 0x1e0, v133
	v_lshlrev_b32_e32 v2, 4, v135
	v_mul_lo_u16 v3, 0x89, v122
	v_add3_u32 v0, 0, v95, v96
	ds_store_b128 v94, v[12:15] offset:320
	ds_store_b128 v0, v[16:19]
	ds_store_b128 v0, v[20:23] offset:160
	ds_store_b128 v0, v[24:27] offset:320
	v_add3_u32 v0, 0, v1, v2
	v_lshrrev_b16 v210, 12, v3
	v_mul_u32_u24_e32 v1, 0x1e0, v123
	v_lshlrev_b32_e32 v2, 4, v127
	v_mul_u32_u24_e32 v3, 0x1e0, v125
	v_lshlrev_b32_e32 v4, 4, v128
	v_mul_lo_u16 v5, v210, 30
	ds_store_b128 v0, v[28:31]
	ds_store_b128 v0, v[32:35] offset:160
	ds_store_b128 v0, v[36:39] offset:320
	v_add3_u32 v0, 0, v1, v2
	ds_store_b128 v0, v[40:43]
	ds_store_b128 v0, v[44:47] offset:160
	v_add3_u32 v1, 0, v3, v4
	v_mul_u32_u24_e32 v3, 0x1e0, v124
	v_lshlrev_b32_e32 v4, 4, v126
	v_sub_nc_u16 v2, v104, v5
	ds_store_b128 v0, v[48:51] offset:320
	ds_store_b128 v1, v[52:55]
	ds_store_b128 v1, v[56:59] offset:160
	v_and_b32_e32 v210, 0xffff, v210
	v_add3_u32 v0, 0, v3, v4
	ds_store_b128 v1, v[60:63] offset:320
	ds_store_b128 v0, v[64:67]
	ds_store_b128 v0, v[68:71] offset:160
	ds_store_b128 v0, v[72:75] offset:320
	v_mul_lo_u16 v1, 0x89, v121
	v_and_b32_e32 v209, 0xff, v2
	global_wb scope:SCOPE_SE
	s_wait_dscnt 0x0
	s_barrier_signal -1
	s_barrier_wait -1
	v_lshrrev_b16 v207, 12, v1
	v_mul_u32_u24_e32 v2, 9, v209
	global_inv scope:SCOPE_SE
	s_mov_b32 s1, exec_lo
	v_mul_lo_u16 v1, v207, 30
	v_lshlrev_b32_e32 v0, 4, v2
	s_clause 0x3
	global_load_b128 v[48:51], v0, s[8:9] offset:320
	global_load_b128 v[56:59], v0, s[8:9] offset:336
	;; [unrolled: 1-line block ×4, first 2 shown]
	v_sub_nc_u16 v1, v106, v1
	s_clause 0x3
	global_load_b128 v[76:79], v0, s[8:9] offset:384
	global_load_b128 v[72:75], v0, s[8:9] offset:400
	;; [unrolled: 1-line block ×4, first 2 shown]
	v_and_b32_e32 v208, 0xff, v1
	v_mul_u32_u24_e32 v1, 0x8889, v120
	global_load_b128 v[120:123], v0, s[8:9] offset:448
	v_mul_u32_u24_e32 v2, 9, v208
	v_lshrrev_b32_e32 v211, 20, v1
	s_delay_alu instid0(VALU_DEP_2)
	v_lshlrev_b32_e32 v4, 4, v2
	s_clause 0x2
	global_load_b128 v[124:127], v4, s[8:9] offset:336
	global_load_b128 v[152:155], v4, s[8:9] offset:368
	;; [unrolled: 1-line block ×3, first 2 shown]
	v_mul_lo_u16 v0, v211, 30
	global_load_b128 v[164:167], v4, s[8:9] offset:432
	v_sub_nc_u16 v0, v119, v0
	s_delay_alu instid0(VALU_DEP_1) | instskip(NEXT) | instid1(VALU_DEP_1)
	v_and_b32_e32 v212, 0xffff, v0
	v_mul_u32_u24_e32 v0, 9, v212
	s_delay_alu instid0(VALU_DEP_1)
	v_lshlrev_b32_e32 v20, 4, v0
	s_clause 0xd
	global_load_b128 v[168:171], v20, s[8:9] offset:336
	global_load_b128 v[176:179], v20, s[8:9] offset:368
	global_load_b128 v[40:43], v20, s[8:9] offset:400
	global_load_b128 v[36:39], v4, s[8:9] offset:320
	global_load_b128 v[0:3], v4, s[8:9] offset:352
	global_load_b128 v[44:47], v20, s[8:9] offset:432
	global_load_b128 v[32:35], v4, s[8:9] offset:384
	global_load_b128 v[28:31], v4, s[8:9] offset:416
	global_load_b128 v[24:27], v4, s[8:9] offset:448
	global_load_b128 v[16:19], v20, s[8:9] offset:320
	global_load_b128 v[12:15], v20, s[8:9] offset:352
	global_load_b128 v[8:11], v20, s[8:9] offset:384
	global_load_b128 v[4:7], v20, s[8:9] offset:416
	global_load_b128 v[20:23], v20, s[8:9] offset:448
	ds_load_b128 v[88:91], v200
	ds_load_b128 v[92:95], v203
	;; [unrolled: 1-line block ×3, first 2 shown]
	ds_load_b128 v[136:139], v196 offset:19200
	ds_load_b128 v[84:87], v196 offset:32000
	;; [unrolled: 1-line block ×12, first 2 shown]
	s_wait_loadcnt_dscnt 0x1a0e
	v_mul_f64_e32 v[96:97], v[90:91], v[50:51]
	v_mul_f64_e32 v[50:51], v[88:89], v[50:51]
	s_wait_loadcnt_dscnt 0x190d
	v_mul_f64_e32 v[98:99], v[94:95], v[58:59]
	v_mul_f64_e32 v[58:59], v[92:93], v[58:59]
	;; [unrolled: 3-line block ×6, first 2 shown]
	s_wait_loadcnt_dscnt 0x1406
	v_mul_f64_e32 v[229:230], v[182:183], v[70:71]
	s_wait_loadcnt_dscnt 0x1305
	v_mul_f64_e32 v[231:232], v[186:187], v[82:83]
	v_mul_f64_e32 v[82:83], v[184:185], v[82:83]
	;; [unrolled: 1-line block ×3, first 2 shown]
	s_wait_loadcnt_dscnt 0x1101
	v_mul_f64_e32 v[233:234], v[219:220], v[126:127]
	s_wait_loadcnt 0x10
	v_mul_f64_e32 v[237:238], v[174:175], v[154:155]
	v_mul_f64_e32 v[154:155], v[172:173], v[154:155]
	s_wait_loadcnt 0xf
	v_mul_f64_e32 v[239:240], v[194:195], v[162:163]
	v_mul_f64_e32 v[162:163], v[192:193], v[162:163]
	;; [unrolled: 1-line block ×3, first 2 shown]
	v_fma_f64 v[134:135], v[88:89], v[48:49], v[96:97]
	v_fma_f64 v[132:133], v[90:91], v[48:49], -v[50:51]
	ds_load_b128 v[48:51], v196 offset:36800
	v_fma_f64 v[98:99], v[92:93], v[56:57], v[98:99]
	v_fma_f64 v[100:101], v[94:95], v[56:57], -v[58:59]
	ds_load_b128 v[221:224], v196 offset:40000
	ds_load_b128 v[56:59], v196 offset:44800
	v_fma_f64 v[102:103], v[128:129], v[64:65], v[102:103]
	v_fma_f64 v[96:97], v[130:131], v[64:65], -v[66:67]
	v_mul_f64_e32 v[64:65], v[190:191], v[122:123]
	v_mul_f64_e32 v[66:67], v[188:189], v[122:123]
	ds_load_b128 v[225:228], v196 offset:12800
	ds_load_b128 v[88:91], v196 offset:41600
	;; [unrolled: 1-line block ×3, first 2 shown]
	v_fma_f64 v[146:147], v[136:137], v[60:61], v[140:141]
	v_fma_f64 v[140:141], v[138:139], v[60:61], -v[62:63]
	v_fma_f64 v[136:137], v[142:143], v[76:77], v[148:149]
	v_fma_f64 v[138:139], v[144:145], v[76:77], -v[78:79]
	;; [unrolled: 2-line block ×3, first 2 shown]
	v_fma_f64 v[144:145], v[180:181], v[68:69], v[229:230]
	s_wait_loadcnt 0xc
	v_mul_f64_e32 v[180:181], v[215:216], v[178:179]
	v_mul_f64_e32 v[178:179], v[213:214], v[178:179]
	v_fma_f64 v[126:127], v[184:185], v[80:81], v[231:232]
	v_fma_f64 v[122:123], v[186:187], v[80:81], -v[82:83]
	s_wait_dscnt 0x4
	v_mul_f64_e32 v[241:242], v[223:224], v[166:167]
	v_mul_f64_e32 v[166:167], v[221:222], v[166:167]
	ds_load_b128 v[60:63], v196 offset:16000
	s_wait_loadcnt 0xb
	v_mul_f64_e32 v[184:185], v[86:87], v[42:43]
	v_mul_f64_e32 v[186:187], v[84:85], v[42:43]
	v_fma_f64 v[156:157], v[172:173], v[152:153], v[237:238]
	s_wait_dscnt 0x3
	v_mul_f64_e32 v[243:244], v[227:228], v[170:171]
	v_mul_f64_e32 v[170:171], v[225:226], v[170:171]
	v_fma_f64 v[158:159], v[174:175], v[152:153], -v[154:155]
	v_fma_f64 v[154:155], v[192:193], v[160:161], v[239:240]
	v_fma_f64 v[152:153], v[194:195], v[160:161], -v[162:163]
	s_wait_loadcnt_dscnt 0x802
	v_mul_f64_e32 v[192:193], v[90:91], v[46:47]
	v_mul_f64_e32 v[194:195], v[88:89], v[46:47]
	v_fma_f64 v[142:143], v[182:183], v[68:69], -v[70:71]
	ds_load_b128 v[80:83], v196 offset:25600
	ds_load_b128 v[68:71], v196 offset:8000
	;; [unrolled: 1-line block ×4, first 2 shown]
	v_fma_f64 v[130:131], v[188:189], v[120:121], v[64:65]
	v_fma_f64 v[128:129], v[190:191], v[120:121], -v[66:67]
	ds_load_b128 v[64:67], v196 offset:46400
	v_fma_f64 v[120:121], v[217:218], v[124:125], v[233:234]
	v_fma_f64 v[124:125], v[219:220], v[124:125], -v[235:236]
	s_wait_dscnt 0x6
	v_mul_f64_e32 v[188:189], v[94:95], v[38:39]
	v_mul_f64_e32 v[190:191], v[92:93], v[38:39]
	s_wait_dscnt 0x5
	v_mul_f64_e32 v[160:161], v[62:63], v[2:3]
	v_mul_f64_e32 v[162:163], v[60:61], v[2:3]
	s_wait_loadcnt_dscnt 0x704
	v_mul_f64_e32 v[46:47], v[82:83], v[34:35]
	v_mul_f64_e32 v[34:35], v[80:81], v[34:35]
	s_wait_loadcnt_dscnt 0x403
	v_mul_f64_e32 v[172:173], v[70:71], v[18:19]
	v_mul_f64_e32 v[174:175], v[68:69], v[18:19]
	v_fma_f64 v[18:19], v[215:216], v[176:177], -v[178:179]
	v_fma_f64 v[42:43], v[221:222], v[164:165], v[241:242]
	v_fma_f64 v[38:39], v[223:224], v[164:165], -v[166:167]
	v_mul_f64_e32 v[164:165], v[54:55], v[30:31]
	v_mul_f64_e32 v[166:167], v[52:53], v[30:31]
	s_wait_loadcnt_dscnt 0x302
	v_mul_f64_e32 v[178:179], v[76:77], v[14:15]
	s_wait_loadcnt_dscnt 0x201
	v_mul_f64_e32 v[182:183], v[72:73], v[10:11]
	v_fma_f64 v[2:3], v[225:226], v[168:169], v[243:244]
	v_fma_f64 v[30:31], v[227:228], v[168:169], -v[170:171]
	v_mul_f64_e32 v[168:169], v[58:59], v[26:27]
	v_mul_f64_e32 v[170:171], v[56:57], v[26:27]
	v_fma_f64 v[26:27], v[213:214], v[176:177], v[180:181]
	v_mul_f64_e32 v[176:177], v[78:79], v[14:15]
	v_mul_f64_e32 v[180:181], v[74:75], v[10:11]
	v_fma_f64 v[84:85], v[84:85], v[40:41], v[184:185]
	v_fma_f64 v[40:41], v[86:87], v[40:41], -v[186:187]
	ds_load_b128 v[184:187], v196
	s_wait_loadcnt 0x1
	v_mul_f64_e32 v[213:214], v[50:51], v[6:7]
	v_mul_f64_e32 v[215:216], v[48:49], v[6:7]
	s_wait_loadcnt_dscnt 0x1
	v_mul_f64_e32 v[217:218], v[66:67], v[22:23]
	v_mul_f64_e32 v[219:220], v[64:65], v[22:23]
	v_fma_f64 v[6:7], v[88:89], v[44:45], v[192:193]
	v_fma_f64 v[10:11], v[90:91], v[44:45], -v[194:195]
	v_add_f64_e64 v[227:228], v[120:121], -v[156:157]
	v_add_f64_e64 v[231:232], v[124:125], -v[158:159]
	v_fma_f64 v[44:45], v[92:93], v[36:37], v[188:189]
	v_fma_f64 v[22:23], v[94:95], v[36:37], -v[190:191]
	v_fma_f64 v[86:87], v[60:61], v[0:1], v[160:161]
	v_fma_f64 v[60:61], v[62:63], v[0:1], -v[162:163]
	v_add_f64_e32 v[36:37], v[158:159], v[152:153]
	ds_load_b128 v[188:191], v206
	ds_load_b128 v[192:195], v107
	v_fma_f64 v[90:91], v[80:81], v[32:33], v[46:47]
	v_fma_f64 v[92:93], v[82:83], v[32:33], -v[34:35]
	v_fma_f64 v[82:83], v[68:69], v[16:17], v[172:173]
	v_fma_f64 v[80:81], v[70:71], v[16:17], -v[174:175]
	v_add_f64_e64 v[172:173], v[96:97], -v[138:139]
	v_add_f64_e32 v[34:35], v[120:121], v[42:43]
	v_add_f64_e32 v[46:47], v[124:125], v[38:39]
	v_fma_f64 v[94:95], v[52:53], v[28:29], v[164:165]
	v_fma_f64 v[88:89], v[54:55], v[28:29], -v[166:167]
	v_fma_f64 v[32:33], v[78:79], v[12:13], -v[178:179]
	;; [unrolled: 1-line block ×3, first 2 shown]
	v_add_f64_e32 v[28:29], v[156:157], v[154:155]
	v_add_f64_e64 v[164:165], v[100:101], -v[140:141]
	v_fma_f64 v[0:1], v[56:57], v[24:25], v[168:169]
	v_fma_f64 v[14:15], v[58:59], v[24:25], -v[170:171]
	v_add_f64_e32 v[24:25], v[100:101], v[122:123]
	v_fma_f64 v[52:53], v[76:77], v[12:13], v[176:177]
	v_fma_f64 v[72:73], v[72:73], v[8:9], v[180:181]
	v_add_f64_e64 v[56:57], v[126:127], -v[150:151]
	v_add_f64_e32 v[58:59], v[18:19], v[40:41]
	v_add_f64_e64 v[166:167], v[122:123], -v[148:149]
	v_fma_f64 v[74:75], v[48:49], v[4:5], v[213:214]
	v_fma_f64 v[70:71], v[50:51], v[4:5], -v[215:216]
	v_fma_f64 v[4:5], v[64:65], v[20:21], v[217:218]
	v_fma_f64 v[8:9], v[66:67], v[20:21], -v[219:220]
	v_add_f64_e32 v[20:21], v[140:141], v[148:149]
	v_add_f64_e64 v[48:49], v[98:99], -v[146:147]
	v_add_f64_e32 v[50:51], v[26:27], v[84:85]
	v_add_f64_e32 v[54:55], v[2:3], v[6:7]
	;; [unrolled: 1-line block ×3, first 2 shown]
	v_add_f64_e64 v[168:169], v[102:103], -v[136:137]
	v_add_f64_e64 v[170:171], v[130:131], -v[144:145]
	v_add_f64_e64 v[174:175], v[128:129], -v[142:143]
	v_add_f64_e64 v[176:177], v[146:147], -v[98:99]
	v_add_f64_e64 v[178:179], v[150:151], -v[126:127]
	v_add_f64_e64 v[180:181], v[140:141], -v[100:101]
	v_add_f64_e64 v[182:183], v[148:149], -v[122:123]
	s_wait_dscnt 0x2
	v_add_f64_e32 v[162:163], v[186:187], v[100:101]
	v_add_f64_e64 v[213:214], v[136:137], -v[102:103]
	v_add_f64_e64 v[215:216], v[144:145], -v[130:131]
	;; [unrolled: 1-line block ×4, first 2 shown]
	s_wait_dscnt 0x1
	v_add_f64_e32 v[221:222], v[188:189], v[120:121]
	v_add_f64_e32 v[223:224], v[190:191], v[124:125]
	s_wait_dscnt 0x0
	v_add_f64_e32 v[225:226], v[192:193], v[2:3]
	v_add_f64_e32 v[235:236], v[194:195], v[30:31]
	v_fma_f64 v[78:79], v[34:35], -0.5, v[188:189]
	v_fma_f64 v[62:63], v[36:37], -0.5, v[190:191]
	v_fma_f64 v[76:77], v[46:47], -0.5, v[190:191]
	v_fma_f64 v[64:65], v[28:29], -0.5, v[188:189]
	v_add_f64_e64 v[28:29], v[60:61], -v[92:93]
	v_add_f64_e64 v[190:191], v[156:157], -v[120:121]
	;; [unrolled: 1-line block ×3, first 2 shown]
	v_add_f64_e32 v[160:161], v[184:185], v[98:99]
	v_add_f64_e32 v[12:13], v[146:147], v[150:151]
	v_add_f64_e64 v[229:230], v[42:43], -v[154:155]
	v_add_f64_e64 v[233:234], v[38:39], -v[152:153]
	;; [unrolled: 1-line block ×3, first 2 shown]
	v_add_f64_e32 v[36:37], v[164:165], v[166:167]
	v_add_f64_e64 v[164:165], v[152:153], -v[38:39]
	v_add_f64_e64 v[166:167], v[90:91], -v[86:87]
	;; [unrolled: 1-line block ×3, first 2 shown]
	v_add_f64_e32 v[16:17], v[98:99], v[126:127]
	v_fma_f64 v[239:240], v[20:21], -0.5, v[186:187]
	v_fma_f64 v[186:187], v[24:25], -0.5, v[186:187]
	;; [unrolled: 1-line block ×6, first 2 shown]
	v_add_f64_e64 v[192:193], v[154:155], -v[42:43]
	v_add_f64_e32 v[34:35], v[48:49], v[56:57]
	v_add_f64_e64 v[194:195], v[158:159], -v[124:125]
	v_add_f64_e32 v[58:59], v[168:169], v[170:171]
	v_add_f64_e32 v[168:169], v[172:173], v[174:175]
	v_add_f64_e64 v[170:171], v[94:95], -v[0:1]
	v_add_f64_e32 v[46:47], v[176:177], v[178:179]
	v_add_f64_e64 v[172:173], v[92:93], -v[60:61]
	;; [unrolled: 2-line block ×3, first 2 shown]
	v_add_f64_e64 v[176:177], v[2:3], -v[26:27]
	v_add_f64_e64 v[180:181], v[6:7], -v[84:85]
	v_add_f64_e32 v[66:67], v[213:214], v[215:216]
	v_add_f64_e32 v[178:179], v[217:218], v[219:220]
	v_add_f64_e64 v[182:183], v[30:31], -v[18:19]
	v_add_f64_e64 v[213:214], v[10:11], -v[40:41]
	;; [unrolled: 1-line block ×4, first 2 shown]
	v_add_f64_e32 v[162:163], v[162:163], v[140:141]
	v_add_f64_e64 v[140:141], v[140:141], -v[148:149]
	v_add_f64_e32 v[219:220], v[223:224], v[158:159]
	v_add_f64_e32 v[188:189], v[28:29], v[188:189]
	;; [unrolled: 1-line block ×3, first 2 shown]
	v_add_f64_e64 v[146:147], v[146:147], -v[150:151]
	v_add_f64_e64 v[158:159], v[158:159], -v[152:153]
	v_add_f64_e32 v[223:224], v[235:236], v[18:19]
	v_fma_f64 v[237:238], v[12:13], -0.5, v[184:185]
	v_add_f64_e64 v[98:99], v[98:99], -v[126:127]
	v_add_f64_e64 v[100:101], v[100:101], -v[122:123]
	v_add_f64_e32 v[12:13], v[227:228], v[229:230]
	v_add_f64_e64 v[124:125], v[124:125], -v[38:39]
	v_fma_f64 v[184:185], v[16:17], -0.5, v[184:185]
	v_add_f64_e64 v[120:121], v[120:121], -v[42:43]
	v_add_f64_e32 v[16:17], v[231:232], v[233:234]
	v_mul_u32_u24_e32 v233, 0x12c0, v210
	v_lshlrev_b32_e32 v234, 4, v209
	v_add_f64_e32 v[56:57], v[241:242], v[243:244]
	global_wb scope:SCOPE_SE
	v_add_f64_e32 v[28:29], v[190:191], v[192:193]
	v_add_f64_e64 v[190:191], v[32:33], -v[68:69]
	v_add_f64_e32 v[164:165], v[194:195], v[164:165]
	v_add_f64_e64 v[192:193], v[8:9], -v[70:71]
	v_add_f64_e64 v[194:195], v[40:41], -v[10:11]
	v_add_f64_e32 v[166:167], v[166:167], v[170:171]
	v_add_f64_e64 v[170:171], v[26:27], -v[2:3]
	v_add_f64_e64 v[2:3], v[2:3], -v[6:7]
	s_barrier_signal -1
	v_add_f64_e32 v[172:173], v[172:173], v[174:175]
	v_add_f64_e64 v[174:175], v[84:85], -v[6:7]
	v_add_f64_e32 v[176:177], v[176:177], v[180:181]
	v_add_f64_e64 v[180:181], v[18:19], -v[30:31]
	v_add_f64_e64 v[30:31], v[30:31], -v[10:11]
	s_barrier_wait -1
	v_add_f64_e32 v[182:183], v[182:183], v[213:214]
	global_inv scope:SCOPE_SE
	v_add_f64_e32 v[213:214], v[215:216], v[217:218]
	v_add_f64_e64 v[215:216], v[72:73], -v[52:53]
	v_add_f64_e32 v[148:149], v[162:163], v[148:149]
	v_add_f64_e32 v[162:163], v[96:97], v[128:129]
	v_add_f64_e32 v[217:218], v[221:222], v[156:157]
	v_add_f64_e32 v[150:151], v[160:161], v[150:151]
	v_add_f64_e32 v[160:161], v[102:103], v[130:131]
	v_add_f64_e64 v[156:157], v[156:157], -v[154:155]
	v_add_f64_e32 v[152:153], v[219:220], v[152:153]
	v_add_f64_e32 v[219:220], v[60:61], v[14:15]
	;; [unrolled: 1-line block ×3, first 2 shown]
	v_add_f64_e64 v[26:27], v[26:27], -v[84:85]
	v_add_f64_e64 v[225:226], v[18:19], -v[40:41]
	v_add_f64_e32 v[18:19], v[32:33], v[8:9]
	v_add_f64_e32 v[223:224], v[223:224], v[40:41]
	v_fma_f64 v[227:228], v[98:99], s[22:23], v[239:240]
	v_add_f64_e32 v[190:191], v[190:191], v[192:193]
	v_add_f64_e64 v[192:193], v[74:75], -v[4:5]
	v_fma_f64 v[229:230], v[2:3], s[22:23], v[24:25]
	v_add_f64_e32 v[170:171], v[170:171], v[174:175]
	v_add_f64_e64 v[174:175], v[68:69], -v[32:33]
	v_add_f64_e32 v[180:181], v[180:181], v[194:195]
	v_add_f64_e64 v[194:195], v[70:71], -v[8:9]
	v_fma_f64 v[209:210], v[30:31], s[12:13], v[20:21]
	v_add_f64_e32 v[122:123], v[148:149], v[122:123]
	v_fma_f64 v[162:163], v[162:163], -0.5, v[132:133]
	v_add_f64_e32 v[154:155], v[217:218], v[154:155]
	v_add_f64_e32 v[217:218], v[92:93], v[88:89]
	v_fma_f64 v[160:161], v[160:161], -0.5, v[134:135]
	v_add_f64_e32 v[126:127], v[150:151], v[126:127]
	v_fma_f64 v[148:149], v[146:147], s[22:23], v[186:187]
	v_fma_f64 v[219:220], v[219:220], -0.5, v[22:23]
	v_add_f64_e32 v[84:85], v[221:222], v[84:85]
	v_add_f64_e32 v[221:222], v[68:69], v[70:71]
	v_fma_f64 v[186:187], v[146:147], s[12:13], v[186:187]
	v_fma_f64 v[18:19], v[18:19], -0.5, v[80:81]
	v_add_f64_e32 v[152:153], v[152:153], v[38:39]
	v_add_f64_e32 v[192:193], v[215:216], v[192:193]
	;; [unrolled: 1-line block ×6, first 2 shown]
	v_fma_f64 v[217:218], v[217:218], -0.5, v[22:23]
	v_add_f64_e32 v[22:23], v[22:23], v[60:61]
	v_add_f64_e64 v[60:61], v[60:61], -v[14:15]
	v_fma_f64 v[148:149], v[98:99], s[10:11], v[148:149]
	v_fma_f64 v[42:43], v[120:121], s[12:13], v[62:63]
	;; [unrolled: 1-line block ×3, first 2 shown]
	v_add_f64_e32 v[84:85], v[84:85], v[6:7]
	v_fma_f64 v[215:216], v[215:216], -0.5, v[134:135]
	v_add_f64_e32 v[134:135], v[134:135], v[102:103]
	v_add_f64_e64 v[102:103], v[102:103], -v[130:131]
	v_fma_f64 v[194:195], v[194:195], -0.5, v[132:133]
	v_add_f64_e32 v[132:133], v[132:133], v[96:97]
	v_add_f64_e64 v[96:97], v[96:97], -v[128:129]
	v_add_f64_e32 v[22:23], v[22:23], v[92:93]
	v_add_f64_e64 v[92:93], v[92:93], -v[88:89]
	v_fma_f64 v[148:149], v[48:49], s[4:5], v[148:149]
	v_fma_f64 v[62:63], v[156:157], s[20:21], v[62:63]
	v_add_f64_e32 v[134:135], v[134:135], v[136:137]
	v_add_f64_e64 v[136:137], v[136:137], -v[144:145]
	v_fma_f64 v[150:151], v[102:103], s[12:13], v[194:195]
	v_add_f64_e32 v[132:133], v[132:133], v[138:139]
	v_add_f64_e64 v[138:139], v[138:139], -v[142:143]
	v_fma_f64 v[194:195], v[102:103], s[22:23], v[194:195]
	v_add_f64_e32 v[88:89], v[22:23], v[88:89]
	v_add_f64_e32 v[22:23], v[52:53], v[4:5]
	;; [unrolled: 1-line block ×4, first 2 shown]
	v_fma_f64 v[150:151], v[136:137], s[10:11], v[150:151]
	v_add_f64_e32 v[132:133], v[132:133], v[142:143]
	v_add_f64_e32 v[142:143], v[86:87], v[0:1]
	;; [unrolled: 1-line block ×3, first 2 shown]
	v_fma_f64 v[22:23], v[22:23], -0.5, v[82:83]
	v_add_f64_e32 v[88:89], v[223:224], v[10:11]
	v_add_f64_e32 v[130:131], v[134:135], v[130:131]
	v_fma_f64 v[144:145], v[144:145], -0.5, v[44:45]
	v_fma_f64 v[134:135], v[138:139], s[12:13], v[160:161]
	v_fma_f64 v[160:161], v[138:139], s[22:23], v[160:161]
	;; [unrolled: 1-line block ×3, first 2 shown]
	v_add_f64_e32 v[128:129], v[132:133], v[128:129]
	v_fma_f64 v[142:143], v[142:143], -0.5, v[44:45]
	v_add_f64_e32 v[44:45], v[44:45], v[86:87]
	v_add_f64_e64 v[86:87], v[86:87], -v[0:1]
	v_fma_f64 v[132:133], v[100:101], s[22:23], v[237:238]
	v_add_f64_e64 v[6:7], v[152:153], -v[14:15]
	v_fma_f64 v[134:135], v[96:97], s[20:21], v[134:135]
	v_add_f64_e32 v[44:45], v[44:45], v[90:91]
	v_add_f64_e64 v[90:91], v[90:91], -v[94:95]
	v_fma_f64 v[132:133], v[140:141], s[20:21], v[132:133]
	s_delay_alu instid0(VALU_DEP_4) | instskip(NEXT) | instid1(VALU_DEP_4)
	v_fma_f64 v[134:135], v[66:67], s[4:5], v[134:135]
	v_add_f64_e32 v[94:95], v[44:45], v[94:95]
	v_add_f64_e32 v[44:45], v[72:73], v[74:75]
	s_delay_alu instid0(VALU_DEP_4) | instskip(NEXT) | instid1(VALU_DEP_3)
	v_fma_f64 v[132:133], v[34:35], s[4:5], v[132:133]
	v_add_f64_e32 v[94:95], v[94:95], v[0:1]
	s_delay_alu instid0(VALU_DEP_3)
	v_fma_f64 v[40:41], v[44:45], -0.5, v[82:83]
	v_add_f64_e32 v[44:45], v[82:83], v[52:53]
	v_fma_f64 v[82:83], v[221:222], -0.5, v[80:81]
	v_add_f64_e32 v[80:81], v[80:81], v[32:33]
	v_fma_f64 v[221:222], v[100:101], s[12:13], v[237:238]
	v_add_f64_e64 v[52:53], v[52:53], -v[4:5]
	v_add_f64_e64 v[32:33], v[32:33], -v[8:9]
	v_add_f64_e32 v[0:1], v[154:155], v[94:95]
	v_add_f64_e32 v[44:45], v[44:45], v[72:73]
	v_add_f64_e64 v[72:73], v[72:73], -v[74:75]
	v_add_f64_e32 v[80:81], v[80:81], v[68:69]
	v_add_f64_e64 v[68:69], v[68:69], -v[70:71]
	v_fma_f64 v[38:39], v[52:53], s[12:13], v[82:83]
	v_fma_f64 v[82:83], v[52:53], s[22:23], v[82:83]
	v_add_f64_e32 v[74:75], v[44:45], v[74:75]
	v_fma_f64 v[44:45], v[140:141], s[12:13], v[184:185]
	v_fma_f64 v[184:185], v[140:141], s[22:23], v[184:185]
	v_add_f64_e32 v[70:71], v[80:81], v[70:71]
	v_fma_f64 v[80:81], v[136:137], s[22:23], v[162:163]
	v_fma_f64 v[162:163], v[136:137], s[12:13], v[162:163]
	;; [unrolled: 1-line block ×9, first 2 shown]
	v_add_f64_e32 v[74:75], v[74:75], v[4:5]
	v_fma_f64 v[44:45], v[100:101], s[20:21], v[44:45]
	v_fma_f64 v[100:101], v[100:101], s[10:11], v[184:185]
	;; [unrolled: 1-line block ×19, first 2 shown]
	v_add_f64_e32 v[70:71], v[70:71], v[8:9]
	v_add_f64_e64 v[4:5], v[154:155], -v[94:95]
	v_add_f64_e32 v[8:9], v[84:85], v[74:75]
	v_fma_f64 v[44:45], v[46:47], s[4:5], v[44:45]
	v_fma_f64 v[100:101], v[46:47], s[4:5], v[100:101]
	;; [unrolled: 1-line block ×28, first 2 shown]
	v_add_f64_e32 v[18:19], v[126:127], v[130:131]
	v_fma_f64 v[78:79], v[28:29], s[4:5], v[78:79]
	v_add_f64_e32 v[10:11], v[88:89], v[70:71]
	v_fma_f64 v[227:228], v[60:61], s[20:21], v[227:228]
	v_fma_f64 v[60:61], v[60:61], s[10:11], v[142:143]
	;; [unrolled: 1-line block ×9, first 2 shown]
	v_mul_f64_e32 v[162:163], s[20:21], v[150:151]
	v_mul_f64_e32 v[150:151], s[18:19], v[150:151]
	;; [unrolled: 1-line block ×6, first 2 shown]
	v_fma_f64 v[178:179], v[92:93], s[20:21], v[178:179]
	v_fma_f64 v[92:93], v[92:93], s[10:11], v[144:145]
	;; [unrolled: 1-line block ×5, first 2 shown]
	v_mul_f64_e32 v[138:139], s[20:21], v[136:137]
	v_fma_f64 v[217:218], v[30:31], s[22:23], v[20:21]
	v_fma_f64 v[124:125], v[30:31], s[20:21], v[124:125]
	;; [unrolled: 1-line block ×4, first 2 shown]
	v_mul_f64_e32 v[136:137], s[14:15], v[136:137]
	v_fma_f64 v[120:121], v[2:3], s[10:11], v[120:121]
	v_fma_f64 v[2:3], v[2:3], s[20:21], v[50:51]
	;; [unrolled: 1-line block ×6, first 2 shown]
	v_add_f64_e32 v[20:21], v[122:123], v[128:129]
	v_add_f64_e64 v[24:25], v[122:123], -v[128:129]
	v_fma_f64 v[128:129], v[166:167], s[4:5], v[227:228]
	v_fma_f64 v[54:55], v[188:189], s[4:5], v[142:143]
	;; [unrolled: 1-line block ×5, first 2 shown]
	v_add_f64_e64 v[22:23], v[126:127], -v[130:131]
	v_fma_f64 v[126:127], v[174:175], s[4:5], v[52:53]
	v_fma_f64 v[130:131], v[166:167], s[4:5], v[60:61]
	;; [unrolled: 1-line block ×16, first 2 shown]
	v_mul_f64_e32 v[188:189], s[20:21], v[38:39]
	v_fma_f64 v[146:147], v[190:191], s[4:5], v[30:31]
	v_fma_f64 v[136:137], v[58:59], s[10:11], v[136:137]
	v_mul_f64_e32 v[190:191], s[18:19], v[38:39]
	v_fma_f64 v[92:93], v[56:57], s[4:5], v[92:93]
	v_fma_f64 v[156:157], v[213:214], s[4:5], v[50:51]
	v_mul_f64_e32 v[172:173], s[22:23], v[82:83]
	v_mul_f64_e32 v[82:83], s[4:5], v[82:83]
	v_fma_f64 v[26:27], v[26:27], s[20:21], v[229:230]
	v_fma_f64 v[68:69], v[213:214], s[4:5], v[68:69]
	;; [unrolled: 1-line block ×4, first 2 shown]
	v_mul_f64_e32 v[166:167], s[20:21], v[54:55]
	v_mul_f64_e32 v[168:169], s[18:19], v[54:55]
	;; [unrolled: 1-line block ×4, first 2 shown]
	v_add_f64_e32 v[30:31], v[132:133], v[162:163]
	v_add_f64_e32 v[32:33], v[160:161], v[42:43]
	v_add_f64_e64 v[36:37], v[160:161], -v[42:43]
	v_add_f64_e32 v[38:39], v[44:45], v[150:151]
	v_add_f64_e32 v[40:41], v[148:149], v[80:81]
	v_add_f64_e64 v[42:43], v[44:45], -v[150:151]
	v_add_f64_e64 v[44:45], v[148:149], -v[80:81]
	v_add_f64_e32 v[48:49], v[98:99], v[66:67]
	v_add_f64_e64 v[52:53], v[98:99], -v[66:67]
	v_fma_f64 v[66:67], v[192:193], s[4:5], v[72:73]
	v_mul_f64_e32 v[72:73], s[22:23], v[144:145]
	v_mul_f64_e32 v[80:81], s[4:5], v[144:145]
	;; [unrolled: 1-line block ×4, first 2 shown]
	v_add_f64_e32 v[46:47], v[100:101], v[96:97]
	v_add_f64_e64 v[50:51], v[100:101], -v[96:97]
	v_add_f64_e32 v[54:55], v[102:103], v[138:139]
	v_add_f64_e64 v[58:59], v[102:103], -v[138:139]
	v_fma_f64 v[96:97], v[192:193], s[4:5], v[142:143]
	v_mul_f64_e32 v[100:101], s[22:23], v[126:127]
	v_mul_f64_e32 v[102:103], s[16:17], v[126:127]
	v_add_f64_e64 v[34:35], v[132:133], -v[162:163]
	v_fma_f64 v[98:99], v[225:226], s[10:11], v[209:210]
	v_mul_f64_e32 v[126:127], s[20:21], v[146:147]
	v_mul_f64_e32 v[132:133], s[14:15], v[146:147]
	v_add_f64_e32 v[56:57], v[134:135], v[136:137]
	v_add_f64_e64 v[60:61], v[134:135], -v[136:137]
	v_fma_f64 v[136:137], v[12:13], s[4:5], v[215:216]
	v_fma_f64 v[138:139], v[16:17], s[4:5], v[158:159]
	;; [unrolled: 1-line block ×20, first 2 shown]
	v_add_f64_e32 v[2:3], v[152:153], v[14:15]
	v_fma_f64 v[164:165], v[66:67], s[4:5], v[72:73]
	v_fma_f64 v[166:167], v[66:67], s[12:13], v[80:81]
	;; [unrolled: 1-line block ×4, first 2 shown]
	v_add_f64_e64 v[12:13], v[84:85], -v[74:75]
	v_add_f64_e64 v[14:15], v[88:89], -v[70:71]
	v_add3_u32 v192, 0, v233, v234
	ds_store_b128 v192, v[18:21]
	ds_store_b128 v192, v[30:33] offset:480
	v_fma_f64 v[174:175], v[96:97], s[16:17], v[100:101]
	v_fma_f64 v[102:103], v[96:97], s[12:13], v[102:103]
	;; [unrolled: 1-line block ×5, first 2 shown]
	ds_store_b128 v192, v[38:41] offset:960
	ds_store_b128 v192, v[46:49] offset:1440
	;; [unrolled: 1-line block ×4, first 2 shown]
	v_mul_i32_i24_e32 v23, 9, v106
	v_mov_b32_e32 v24, 0
	v_add_f64_e32 v[26:27], v[136:137], v[134:135]
	v_add_f64_e32 v[28:29], v[138:139], v[122:123]
	v_add_f64_e64 v[62:63], v[136:137], -v[134:135]
	v_add_f64_e64 v[64:65], v[138:139], -v[122:123]
	v_add_f64_e32 v[66:67], v[128:129], v[142:143]
	v_add_f64_e32 v[68:69], v[144:145], v[82:83]
	v_add_f64_e64 v[94:95], v[162:163], -v[160:161]
	v_add_f64_e64 v[96:97], v[140:141], -v[156:157]
	;; [unrolled: 1-line block ×4, first 2 shown]
	v_add_f64_e32 v[74:75], v[78:79], v[148:149]
	v_add_f64_e32 v[76:77], v[146:147], v[130:131]
	v_add_f64_e64 v[78:79], v[78:79], -v[148:149]
	v_add_f64_e64 v[80:81], v[146:147], -v[130:131]
	v_add_f64_e32 v[92:93], v[140:141], v[156:157]
	v_add_f64_e64 v[120:121], v[124:125], -v[164:165]
	v_add_f64_e64 v[122:123], v[168:169], -v[166:167]
	v_add_f64_e32 v[82:83], v[150:151], v[158:159]
	v_add_f64_e32 v[84:85], v[16:17], v[90:91]
	v_add_f64_e64 v[86:87], v[150:151], -v[158:159]
	v_add_f64_e64 v[88:89], v[16:17], -v[90:91]
	v_add_f64_e32 v[90:91], v[162:163], v[160:161]
	v_add_f64_e32 v[98:99], v[124:125], v[164:165]
	;; [unrolled: 1-line block ×3, first 2 shown]
	v_and_b32_e32 v16, 0xffff, v207
	v_lshlrev_b32_e32 v17, 4, v208
	v_add_f64_e64 v[132:133], v[170:171], -v[174:175]
	v_add_f64_e64 v[134:135], v[172:173], -v[102:103]
	v_add_f64_e32 v[124:125], v[170:171], v[174:175]
	v_add_f64_e64 v[136:137], v[176:177], -v[180:181]
	v_add_f64_e64 v[138:139], v[178:179], -v[182:183]
	v_add_f64_e32 v[126:127], v[172:173], v[102:103]
	v_add_f64_e32 v[128:129], v[176:177], v[180:181]
	;; [unrolled: 1-line block ×3, first 2 shown]
	v_mul_u32_u24_e32 v16, 0x12c0, v16
	s_delay_alu instid0(VALU_DEP_1)
	v_add3_u32 v16, 0, v16, v17
	ds_store_b128 v192, v[34:37] offset:2880
	ds_store_b128 v192, v[42:45] offset:3360
	;; [unrolled: 1-line block ×4, first 2 shown]
	ds_store_b128 v16, v[0:3]
	ds_store_b128 v16, v[26:29] offset:480
	v_mul_u32_u24_e32 v0, 0x12c0, v211
	v_lshlrev_b32_e32 v1, 4, v212
	ds_store_b128 v16, v[66:69] offset:960
	ds_store_b128 v16, v[74:77] offset:1440
	ds_store_b128 v16, v[82:85] offset:1920
	ds_store_b128 v16, v[4:7] offset:2400
	v_add3_u32 v0, 0, v0, v1
	v_mul_u32_u24_e32 v1, 9, v104
	ds_store_b128 v16, v[62:65] offset:2880
	ds_store_b128 v16, v[70:73] offset:3360
	;; [unrolled: 1-line block ×4, first 2 shown]
	ds_store_b128 v0, v[8:11]
	ds_store_b128 v0, v[90:93] offset:480
	ds_store_b128 v0, v[98:101] offset:960
	;; [unrolled: 1-line block ×5, first 2 shown]
	v_lshlrev_b32_e32 v20, 4, v1
	ds_store_b128 v0, v[94:97] offset:2880
	ds_store_b128 v0, v[120:123] offset:3360
	;; [unrolled: 1-line block ×4, first 2 shown]
	global_wb scope:SCOPE_SE
	s_wait_dscnt 0x0
	s_barrier_signal -1
	s_barrier_wait -1
	global_inv scope:SCOPE_SE
	s_clause 0x7
	global_load_b128 v[16:19], v20, s[8:9] offset:4640
	global_load_b128 v[12:15], v20, s[8:9] offset:4656
	;; [unrolled: 1-line block ×8, first 2 shown]
	v_lshlrev_b64_e32 v[4:5], 4, v[23:24]
	v_mul_i32_i24_e32 v23, 9, v119
	s_delay_alu instid0(VALU_DEP_2) | instskip(SKIP_1) | instid1(VALU_DEP_3)
	v_add_co_u32 v4, s0, s8, v4
	s_wait_alu 0xf1ff
	v_add_co_ci_u32_e64 v5, s0, s9, v5, s0
	s_clause 0x1
	global_load_b128 v[47:50], v[4:5], off offset:4656
	global_load_b128 v[53:56], v[4:5], off offset:4688
	v_lshlrev_b64_e32 v[6:7], 4, v[23:24]
	global_load_b128 v[59:62], v[4:5], off offset:4720
	v_add_co_u32 v6, s0, s8, v6
	s_wait_alu 0xf1ff
	v_add_co_ci_u32_e64 v7, s0, s9, v7, s0
	s_clause 0xf
	global_load_b128 v[63:66], v[4:5], off offset:4752
	global_load_b128 v[89:92], v[6:7], off offset:4656
	;; [unrolled: 1-line block ×5, first 2 shown]
	global_load_b128 v[124:127], v20, s[8:9] offset:4768
	global_load_b128 v[128:131], v[4:5], off offset:4640
	global_load_b128 v[132:135], v[4:5], off offset:4672
	;; [unrolled: 1-line block ×10, first 2 shown]
	ds_load_b128 v[33:36], v200
	ds_load_b128 v[67:70], v203
	;; [unrolled: 1-line block ×3, first 2 shown]
	ds_load_b128 v[75:78], v196 offset:19200
	ds_load_b128 v[160:163], v196 offset:32000
	;; [unrolled: 1-line block ×14, first 2 shown]
	s_wait_loadcnt_dscnt 0x1a10
	v_mul_f64_e32 v[37:38], v[35:36], v[18:19]
	v_mul_f64_e32 v[18:19], v[33:34], v[18:19]
	s_wait_loadcnt_dscnt 0x190f
	v_mul_f64_e32 v[51:52], v[69:70], v[14:15]
	v_mul_f64_e32 v[14:15], v[67:68], v[14:15]
	s_wait_loadcnt_dscnt 0x180e
	v_mul_f64_e32 v[57:58], v[73:74], v[10:11]
	v_mul_f64_e32 v[10:11], v[71:72], v[10:11]
	s_wait_loadcnt_dscnt 0x170d
	v_mul_f64_e32 v[83:84], v[77:78], v[2:3]
	s_wait_loadcnt_dscnt 0x150a
	v_mul_f64_e32 v[227:228], v[166:167], v[31:32]
	v_mul_f64_e32 v[229:230], v[164:165], v[31:32]
	s_wait_loadcnt_dscnt 0x1409
	v_mul_f64_e32 v[231:232], v[170:171], v[41:42]
	v_mul_f64_e32 v[41:42], v[168:169], v[41:42]
	;; [unrolled: 1-line block ×5, first 2 shown]
	s_wait_loadcnt_dscnt 0xf02
	v_mul_f64_e32 v[233:234], v[209:210], v[65:66]
	v_mul_f64_e32 v[65:66], v[207:208], v[65:66]
	v_fma_f64 v[87:88], v[33:34], v[16:17], v[37:38]
	v_fma_f64 v[85:86], v[35:36], v[16:17], -v[18:19]
	v_mul_f64_e32 v[18:19], v[176:177], v[45:46]
	v_fma_f64 v[31:32], v[67:68], v[12:13], v[51:52]
	v_fma_f64 v[33:34], v[69:70], v[12:13], -v[14:15]
	v_mul_f64_e32 v[12:13], v[182:183], v[49:50]
	v_mul_f64_e32 v[16:17], v[178:179], v[45:46]
	;; [unrolled: 1-line block ×5, first 2 shown]
	v_fma_f64 v[35:36], v[71:72], v[8:9], v[57:58]
	v_fma_f64 v[37:38], v[73:74], v[8:9], -v[10:11]
	ds_load_b128 v[8:11], v196 offset:41600
	v_fma_f64 v[67:68], v[75:76], v[0:1], v[83:84]
	ds_load_b128 v[219:222], v196 offset:6400
	ds_load_b128 v[223:226], v196 offset:16000
	v_fma_f64 v[75:76], v[164:165], v[29:30], v[227:228]
	v_fma_f64 v[71:72], v[166:167], v[29:30], -v[229:230]
	v_fma_f64 v[73:74], v[168:169], v[39:40], v[231:232]
	v_fma_f64 v[51:52], v[170:171], v[39:40], -v[41:42]
	ds_load_b128 v[164:167], v196 offset:43200
	ds_load_b128 v[168:171], v196 offset:25600
	v_mul_f64_e32 v[57:58], v[190:191], v[61:62]
	v_mul_f64_e32 v[61:62], v[188:189], v[61:62]
	v_fma_f64 v[69:70], v[77:78], v[0:1], -v[2:3]
	s_wait_loadcnt_dscnt 0xe05
	v_mul_f64_e32 v[235:236], v[217:218], v[91:92]
	v_mul_f64_e32 v[91:92], v[215:216], v[91:92]
	v_fma_f64 v[77:78], v[79:80], v[25:26], v[101:102]
	v_fma_f64 v[79:80], v[81:82], v[25:26], -v[27:28]
	s_wait_loadcnt 0xd
	v_mul_f64_e32 v[29:30], v[186:187], v[95:96]
	v_mul_f64_e32 v[95:96], v[184:185], v[95:96]
	s_wait_loadcnt 0xc
	v_mul_f64_e32 v[101:102], v[162:163], v[99:100]
	v_mul_f64_e32 v[99:100], v[160:161], v[99:100]
	v_fma_f64 v[25:26], v[178:179], v[43:44], -v[18:19]
	s_wait_loadcnt_dscnt 0xb04
	v_mul_f64_e32 v[18:19], v[10:11], v[122:123]
	v_mul_f64_e32 v[122:123], v[8:9], v[122:123]
	v_fma_f64 v[45:46], v[180:181], v[47:48], v[12:13]
	s_wait_loadcnt_dscnt 0xa01
	v_mul_f64_e32 v[12:13], v[166:167], v[126:127]
	v_mul_f64_e32 v[126:127], v[164:165], v[126:127]
	v_fma_f64 v[27:28], v[176:177], v[43:44], v[16:17]
	ds_load_b128 v[176:179], v196 offset:44800
	v_fma_f64 v[47:48], v[182:183], v[47:48], -v[14:15]
	ds_load_b128 v[180:183], v196 offset:8000
	ds_load_b128 v[227:230], v196 offset:17600
	v_fma_f64 v[83:84], v[172:173], v[53:54], v[49:50]
	v_fma_f64 v[81:82], v[174:175], v[53:54], -v[55:56]
	ds_load_b128 v[172:175], v196 offset:27200
	ds_load_b128 v[14:17], v196 offset:46400
	ds_load_b128 v[0:3], v196
	v_fma_f64 v[49:50], v[207:208], v[63:64], v[233:234]
	v_fma_f64 v[43:44], v[209:210], v[63:64], -v[65:66]
	s_wait_loadcnt 0x6
	v_mul_f64_e32 v[207:208], v[194:195], v[142:143]
	v_mul_f64_e32 v[142:143], v[192:193], v[142:143]
	v_fma_f64 v[57:58], v[188:189], v[59:60], v[57:58]
	v_fma_f64 v[55:56], v[190:191], v[59:60], -v[61:62]
	v_mul_f64_e32 v[188:189], v[221:222], v[130:131]
	v_mul_f64_e32 v[130:131], v[219:220], v[130:131]
	;; [unrolled: 1-line block ×4, first 2 shown]
	v_fma_f64 v[39:40], v[215:216], v[89:90], v[235:236]
	v_fma_f64 v[61:62], v[217:218], v[89:90], -v[91:92]
	s_wait_dscnt 0x6
	v_mul_f64_e32 v[89:90], v[170:171], v[138:139]
	v_mul_f64_e32 v[91:92], v[168:169], v[138:139]
	v_fma_f64 v[41:42], v[184:185], v[93:94], v[29:30]
	v_fma_f64 v[63:64], v[186:187], v[93:94], -v[95:96]
	s_wait_loadcnt_dscnt 0x505
	v_mul_f64_e32 v[93:94], v[178:179], v[146:147]
	v_mul_f64_e32 v[95:96], v[176:177], v[146:147]
	s_wait_loadcnt_dscnt 0x404
	v_mul_f64_e32 v[146:147], v[182:183], v[150:151]
	v_mul_f64_e32 v[150:151], v[180:181], v[150:151]
	v_fma_f64 v[29:30], v[160:161], v[97:98], v[101:102]
	v_fma_f64 v[65:66], v[162:163], v[97:98], -v[99:100]
	s_wait_loadcnt_dscnt 0x303
	v_mul_f64_e32 v[99:100], v[229:230], v[154:155]
	v_mul_f64_e32 v[154:155], v[227:228], v[154:155]
	s_wait_loadcnt_dscnt 0x202
	v_mul_f64_e32 v[160:161], v[174:175], v[158:159]
	v_mul_f64_e32 v[158:159], v[172:173], v[158:159]
	v_fma_f64 v[18:19], v[8:9], v[120:121], v[18:19]
	v_fma_f64 v[53:54], v[10:11], v[120:121], -v[122:123]
	s_wait_loadcnt 0x1
	v_mul_f64_e32 v[162:163], v[213:214], v[22:23]
	v_mul_f64_e32 v[184:185], v[211:212], v[22:23]
	s_wait_loadcnt_dscnt 0x1
	v_mul_f64_e32 v[186:187], v[16:17], v[6:7]
	v_mul_f64_e32 v[209:210], v[14:15], v[6:7]
	v_fma_f64 v[59:60], v[164:165], v[124:125], v[12:13]
	v_fma_f64 v[22:23], v[166:167], v[124:125], -v[126:127]
	v_add_f64_e64 v[164:165], v[27:28], -v[75:76]
	v_add_f64_e64 v[166:167], v[33:34], -v[69:70]
	ds_load_b128 v[10:13], v206
	ds_load_b128 v[6:9], v107
	v_add_f64_e64 v[217:218], v[47:48], -v[81:82]
	global_wb scope:SCOPE_SE
	s_wait_dscnt 0x0
	s_barrier_signal -1
	s_barrier_wait -1
	v_fma_f64 v[122:123], v[194:195], v[140:141], -v[142:143]
	v_add_f64_e32 v[142:143], v[69:70], v[71:72]
	v_add_f64_e64 v[194:195], v[77:78], -v[35:36]
	v_fma_f64 v[138:139], v[219:220], v[128:129], v[188:189]
	v_fma_f64 v[101:102], v[221:222], v[128:129], -v[130:131]
	v_fma_f64 v[126:127], v[223:224], v[132:133], v[190:191]
	v_fma_f64 v[128:129], v[225:226], v[132:133], -v[134:135]
	v_fma_f64 v[130:131], v[192:193], v[140:141], v[207:208]
	v_add_f64_e32 v[140:141], v[31:32], v[27:28]
	v_fma_f64 v[134:135], v[168:169], v[136:137], v[89:90]
	v_fma_f64 v[136:137], v[170:171], v[136:137], -v[91:92]
	v_add_f64_e64 v[168:169], v[25:26], -v[71:72]
	v_add_f64_e64 v[170:171], v[35:36], -v[77:78]
	v_fma_f64 v[93:94], v[176:177], v[144:145], v[93:94]
	v_fma_f64 v[91:92], v[178:179], v[144:145], -v[95:96]
	v_fma_f64 v[97:98], v[180:181], v[148:149], v[146:147]
	v_fma_f64 v[120:121], v[182:183], v[148:149], -v[150:151]
	v_add_f64_e32 v[144:145], v[33:34], v[25:26]
	v_add_f64_e32 v[146:147], v[83:84], v[57:58]
	v_fma_f64 v[124:125], v[227:228], v[152:153], v[99:100]
	v_fma_f64 v[95:96], v[229:230], v[152:153], -v[154:155]
	v_fma_f64 v[132:133], v[172:173], v[156:157], v[160:161]
	v_fma_f64 v[89:90], v[174:175], v[156:157], -v[158:159]
	v_add_f64_e32 v[148:149], v[45:46], v[49:50]
	v_add_f64_e32 v[150:151], v[81:82], v[55:56]
	v_fma_f64 v[99:100], v[211:212], v[20:21], v[162:163]
	v_add_f64_e32 v[154:155], v[41:42], v[29:30]
	v_fma_f64 v[14:15], v[14:15], v[4:5], v[186:187]
	v_fma_f64 v[4:5], v[16:17], v[4:5], -v[209:210]
	v_add_f64_e32 v[16:17], v[67:68], v[75:76]
	v_add_f64_e32 v[156:157], v[39:40], v[18:19]
	;; [unrolled: 1-line block ×4, first 2 shown]
	v_add_f64_e64 v[162:163], v[31:32], -v[67:68]
	v_add_f64_e64 v[172:173], v[59:60], -v[73:74]
	;; [unrolled: 1-line block ×8, first 2 shown]
	v_fma_f64 v[20:21], v[213:214], v[20:21], -v[184:185]
	v_add_f64_e32 v[182:183], v[0:1], v[31:32]
	v_add_f64_e32 v[184:185], v[2:3], v[33:34]
	v_add_f64_e64 v[207:208], v[73:74], -v[59:60]
	v_add_f64_e64 v[209:210], v[79:80], -v[37:38]
	;; [unrolled: 1-line block ×3, first 2 shown]
	v_fma_f64 v[231:232], v[140:141], -0.5, v[0:1]
	v_fma_f64 v[233:234], v[142:143], -0.5, v[2:3]
	v_add_f64_e32 v[237:238], v[6:7], v[39:40]
	v_add_f64_e32 v[239:240], v[8:9], v[61:62]
	v_add_f64_e64 v[140:141], v[83:84], -v[45:46]
	v_add_f64_e64 v[142:143], v[57:58], -v[49:50]
	v_add_f64_e32 v[186:187], v[10:11], v[45:46]
	v_add_f64_e32 v[188:189], v[12:13], v[47:48]
	v_fma_f64 v[235:236], v[144:145], -0.5, v[2:3]
	v_fma_f64 v[241:242], v[146:147], -0.5, v[10:11]
	v_add_f64_e64 v[144:145], v[81:82], -v[47:48]
	v_add_f64_e64 v[146:147], v[55:56], -v[43:44]
	;; [unrolled: 1-line block ×4, first 2 shown]
	v_fma_f64 v[243:244], v[148:149], -0.5, v[10:11]
	v_fma_f64 v[245:246], v[150:151], -0.5, v[12:13]
	v_add_f64_e32 v[152:153], v[47:48], v[43:44]
	v_fma_f64 v[150:151], v[154:155], -0.5, v[6:7]
	v_add_f64_e64 v[219:220], v[43:44], -v[55:56]
	v_add_f64_e64 v[33:34], v[33:34], -v[25:26]
	v_fma_f64 v[229:230], v[16:17], -0.5, v[0:1]
	v_fma_f64 v[154:155], v[156:157], -0.5, v[6:7]
	;; [unrolled: 1-line block ×4, first 2 shown]
	v_add_f64_e32 v[2:3], v[162:163], v[164:165]
	v_add_f64_e64 v[158:159], v[134:135], -v[126:127]
	v_add_f64_e32 v[0:1], v[166:167], v[168:169]
	v_add_f64_e64 v[160:161], v[130:131], -v[93:94]
	;; [unrolled: 2-line block ×6, first 2 shown]
	v_add_f64_e64 v[174:175], v[61:62], -v[63:64]
	v_add_f64_e64 v[178:179], v[53:54], -v[65:66]
	;; [unrolled: 1-line block ×4, first 2 shown]
	v_add_f64_e32 v[172:173], v[194:195], v[207:208]
	v_add_f64_e32 v[176:177], v[209:210], v[211:212]
	v_add_f64_e64 v[194:195], v[95:96], -v[89:90]
	v_add_f64_e64 v[209:210], v[4:5], -v[20:21]
	v_add_f64_e32 v[142:143], v[140:141], v[142:143]
	v_add_f64_e32 v[182:183], v[182:183], v[67:68]
	;; [unrolled: 1-line block ×7, first 2 shown]
	v_add_f64_e64 v[67:68], v[67:68], -v[75:76]
	v_add_f64_e64 v[69:70], v[69:70], -v[71:72]
	v_add_f64_e32 v[10:11], v[213:214], v[215:216]
	v_add_f64_e32 v[213:214], v[35:36], v[59:60]
	v_add_f64_e64 v[83:84], v[83:84], -v[57:58]
	v_add_f64_e64 v[81:82], v[81:82], -v[55:56]
	;; [unrolled: 1-line block ×6, first 2 shown]
	v_fma_f64 v[152:153], v[152:153], -0.5, v[12:13]
	v_add_f64_e64 v[31:32], v[31:32], -v[27:28]
	v_add_f64_e32 v[12:13], v[217:218], v[219:220]
	v_add_f64_e64 v[45:46], v[45:46], -v[49:50]
	v_add_f64_e32 v[158:159], v[158:159], v[160:161]
	v_add_f64_e32 v[160:161], v[79:80], v[51:52]
	v_fma_f64 v[217:218], v[33:34], s[12:13], v[229:230]
	v_add_f64_e64 v[47:48], v[47:48], -v[43:44]
	v_add_f64_e32 v[162:163], v[162:163], v[164:165]
	v_add_f64_e32 v[164:165], v[37:38], v[22:23]
	global_inv scope:SCOPE_SE
	v_add_f64_e32 v[140:141], v[166:167], v[170:171]
	v_add_f64_e32 v[166:167], v[134:135], v[130:131]
	;; [unrolled: 1-line block ×7, first 2 shown]
	v_add_f64_e64 v[35:36], v[35:36], -v[59:60]
	v_add_f64_e32 v[180:181], v[194:195], v[209:210]
	v_add_f64_e32 v[209:210], v[138:139], v[126:127]
	;; [unrolled: 1-line block ×6, first 2 shown]
	v_fma_f64 v[194:195], v[211:212], -0.5, v[87:88]
	v_add_f64_e32 v[211:212], v[239:240], v[63:64]
	v_add_f64_e32 v[57:58], v[186:187], v[57:58]
	;; [unrolled: 1-line block ×5, first 2 shown]
	v_fma_f64 v[87:88], v[213:214], -0.5, v[87:88]
	v_add_f64_e64 v[37:38], v[37:38], -v[22:23]
	v_fma_f64 v[213:214], v[69:70], s[22:23], v[231:232]
	v_add_f64_e64 v[126:127], v[126:127], -v[93:94]
	v_fma_f64 v[215:216], v[67:68], s[12:13], v[235:236]
	v_add_f64_e32 v[192:193], v[221:222], v[223:224]
	v_add_f64_e32 v[223:224], v[237:238], v[41:42]
	v_fma_f64 v[219:220], v[31:32], s[22:23], v[233:234]
	v_fma_f64 v[221:222], v[81:82], s[22:23], v[243:244]
	v_add_f64_e32 v[207:208], v[225:226], v[227:228]
	v_fma_f64 v[227:228], v[45:46], s[22:23], v[245:246]
	v_fma_f64 v[160:161], v[160:161], -0.5, v[85:86]
	v_fma_f64 v[225:226], v[47:48], s[12:13], v[241:242]
	v_fma_f64 v[85:86], v[164:165], -0.5, v[85:86]
	v_add_f64_e32 v[164:165], v[101:102], v[128:129]
	v_add_f64_e64 v[128:129], v[128:129], -v[91:92]
	v_fma_f64 v[166:167], v[166:167], -0.5, v[138:139]
	v_fma_f64 v[138:139], v[170:171], -0.5, v[138:139]
	v_add_f64_e32 v[170:171], v[97:98], v[124:125]
	v_add_f64_e32 v[178:179], v[178:179], v[77:78]
	;; [unrolled: 1-line block ×3, first 2 shown]
	v_add_f64_e64 v[77:78], v[77:78], -v[73:74]
	v_add_f64_e64 v[79:80], v[79:80], -v[51:52]
	v_add_f64_e32 v[209:210], v[209:210], v[134:135]
	v_add_f64_e64 v[134:135], v[134:135], -v[130:131]
	v_fma_f64 v[182:183], v[182:183], -0.5, v[101:102]
	v_add_f64_e32 v[25:26], v[71:72], v[25:26]
	v_fma_f64 v[101:102], v[184:185], -0.5, v[101:102]
	v_add_f64_e32 v[184:185], v[120:121], v[95:96]
	v_add_f64_e64 v[71:72], v[95:96], -v[4:5]
	v_add_f64_e32 v[49:50], v[57:58], v[49:50]
	v_fma_f64 v[57:58], v[33:34], s[22:23], v[229:230]
	v_fma_f64 v[186:187], v[186:187], -0.5, v[97:98]
	v_fma_f64 v[97:98], v[188:189], -0.5, v[97:98]
	v_fma_f64 v[188:189], v[67:68], s[22:23], v[235:236]
	v_add_f64_e32 v[27:28], v[75:76], v[27:28]
	v_fma_f64 v[213:214], v[33:34], s[10:11], v[213:214]
	v_add_f64_e32 v[43:44], v[55:56], v[43:44]
	v_fma_f64 v[55:56], v[31:32], s[12:13], v[233:234]
	v_fma_f64 v[215:216], v[31:32], s[20:21], v[215:216]
	v_add_f64_e32 v[164:165], v[164:165], v[136:137]
	v_add_f64_e64 v[136:137], v[136:137], -v[122:123]
	v_add_f64_e32 v[170:171], v[170:171], v[132:133]
	v_add_f64_e32 v[73:74], v[178:179], v[73:74]
	;; [unrolled: 1-line block ×6, first 2 shown]
	v_add_f64_e64 v[209:210], v[61:62], -v[53:54]
	v_add_f64_e64 v[61:62], v[63:64], -v[61:62]
	;; [unrolled: 1-line block ×4, first 2 shown]
	v_add_f64_e32 v[184:185], v[184:185], v[89:90]
	v_add_f64_e64 v[89:90], v[89:90], -v[20:21]
	v_fma_f64 v[75:76], v[77:78], s[22:23], v[85:86]
	v_fma_f64 v[85:86], v[77:78], s[12:13], v[85:86]
	;; [unrolled: 1-line block ×4, first 2 shown]
	v_add_f64_e64 v[31:32], v[20:21], -v[4:5]
	v_fma_f64 v[55:56], v[67:68], s[10:11], v[55:56]
	v_fma_f64 v[67:68], v[67:68], s[20:21], v[219:220]
	v_add_f64_e32 v[122:123], v[164:165], v[122:123]
	v_add_f64_e64 v[164:165], v[65:66], -v[53:54]
	v_add_f64_e32 v[65:66], v[211:212], v[65:66]
	v_add_f64_e64 v[211:212], v[132:133], -v[99:100]
	v_add_f64_e64 v[132:133], v[132:133], -v[124:125]
	;; [unrolled: 1-line block ×3, first 2 shown]
	v_add_f64_e32 v[170:171], v[170:171], v[99:100]
	v_add_f64_e64 v[99:100], v[99:100], -v[14:15]
	v_fma_f64 v[178:179], v[178:179], -0.5, v[120:121]
	v_add_f64_e32 v[22:23], v[51:52], v[22:23]
	v_fma_f64 v[120:121], v[190:191], -0.5, v[120:121]
	v_fma_f64 v[190:191], v[69:70], s[12:13], v[231:232]
	v_fma_f64 v[51:52], v[35:36], s[12:13], v[160:161]
	;; [unrolled: 1-line block ×3, first 2 shown]
	v_add_f64_e32 v[59:60], v[73:74], v[59:60]
	v_fma_f64 v[73:74], v[79:80], s[12:13], v[87:88]
	v_fma_f64 v[87:88], v[79:80], s[22:23], v[87:88]
	v_add_f64_e32 v[93:94], v[130:131], v[93:94]
	v_fma_f64 v[130:131], v[37:38], s[22:23], v[194:195]
	v_fma_f64 v[194:195], v[37:38], s[12:13], v[194:195]
	;; [unrolled: 1-line block ×5, first 2 shown]
	v_add_f64_e32 v[20:21], v[184:185], v[20:21]
	v_fma_f64 v[75:76], v[35:36], s[10:11], v[75:76]
	v_fma_f64 v[35:36], v[35:36], s[20:21], v[85:86]
	v_fma_f64 v[219:220], v[136:137], s[12:13], v[138:139]
	v_fma_f64 v[138:139], v[136:137], s[22:23], v[138:139]
	v_fma_f64 v[85:86], v[47:48], s[22:23], v[241:242]
	v_add_f64_e32 v[95:96], v[95:96], v[31:32]
	v_fma_f64 v[55:56], v[0:1], s[4:5], v[55:56]
	v_fma_f64 v[67:68], v[0:1], s[4:5], v[67:68]
	v_add_f64_e32 v[91:92], v[122:123], v[91:92]
	v_fma_f64 v[122:123], v[81:82], s[12:13], v[243:244]
	v_add_f64_e32 v[53:54], v[65:66], v[53:54]
	v_fma_f64 v[65:66], v[83:84], s[22:23], v[152:153]
	v_fma_f64 v[152:153], v[83:84], s[12:13], v[152:153]
	v_add_f64_e32 v[61:62], v[61:62], v[164:165]
	v_add_f64_e32 v[170:171], v[170:171], v[14:15]
	v_add_f64_e64 v[14:15], v[41:42], -v[39:40]
	v_add_f64_e64 v[39:40], v[39:40], -v[18:19]
	v_fma_f64 v[184:185], v[124:125], s[12:13], v[178:179]
	v_add_f64_e64 v[41:42], v[41:42], -v[29:30]
	v_fma_f64 v[190:191], v[33:34], s[20:21], v[190:191]
	;; [unrolled: 2-line block ×3, first 2 shown]
	v_fma_f64 v[77:78], v[77:78], s[20:21], v[160:161]
	v_fma_f64 v[160:161], v[134:135], s[22:23], v[101:102]
	;; [unrolled: 1-line block ×11, first 2 shown]
	v_add_f64_e32 v[29:30], v[223:224], v[29:30]
	v_fma_f64 v[217:218], v[134:135], s[10:11], v[217:218]
	v_fma_f64 v[134:135], v[134:135], s[20:21], v[182:183]
	v_add_f64_e32 v[99:100], v[132:133], v[99:100]
	v_fma_f64 v[132:133], v[63:64], s[22:23], v[154:155]
	v_add_f64_e32 v[4:5], v[20:21], v[4:5]
	v_fma_f64 v[75:76], v[176:177], s[4:5], v[75:76]
	v_fma_f64 v[176:177], v[176:177], s[4:5], v[35:36]
	v_add_f64_e32 v[20:21], v[25:26], v[22:23]
	v_fma_f64 v[85:86], v[81:82], s[20:21], v[85:86]
	v_fma_f64 v[81:82], v[81:82], s[10:11], v[225:226]
	;; [unrolled: 1-line block ×14, first 2 shown]
	v_add_f64_e32 v[194:195], v[14:15], v[33:34]
	v_fma_f64 v[14:15], v[211:212], s[22:23], v[120:121]
	v_fma_f64 v[33:34], v[211:212], s[12:13], v[120:121]
	;; [unrolled: 1-line block ×16, first 2 shown]
	v_add_f64_e32 v[37:38], v[29:30], v[18:19]
	v_add_f64_e32 v[18:19], v[27:28], v[59:60]
	v_add_f64_e64 v[29:30], v[49:50], -v[93:94]
	v_add_f64_e32 v[35:36], v[53:54], v[4:5]
	v_fma_f64 v[83:84], v[83:84], s[20:21], v[227:228]
	v_fma_f64 v[132:133], v[209:210], s[10:11], v[132:133]
	;; [unrolled: 1-line block ×12, first 2 shown]
	v_add_f64_e64 v[31:32], v[43:44], -v[91:92]
	v_fma_f64 v[166:167], v[124:125], s[10:11], v[14:15]
	v_fma_f64 v[124:125], v[124:125], s[20:21], v[33:34]
	v_add_f64_e64 v[14:15], v[27:28], -v[59:60]
	v_fma_f64 v[59:60], v[16:17], s[4:5], v[77:78]
	v_add_f64_e64 v[16:17], v[25:26], -v[22:23]
	v_fma_f64 v[22:23], v[207:208], s[4:5], v[217:218]
	v_fma_f64 v[77:78], v[162:163], s[4:5], v[160:161]
	;; [unrolled: 1-line block ×3, first 2 shown]
	v_add_f64_e32 v[25:26], v[49:50], v[93:94]
	v_fma_f64 v[49:50], v[207:208], s[4:5], v[134:135]
	v_add_f64_e32 v[27:28], v[43:44], v[91:92]
	v_fma_f64 v[93:94], v[6:7], s[4:5], v[130:131]
	v_mul_f64_e32 v[130:131], s[20:21], v[51:52]
	v_mul_f64_e32 v[51:52], s[18:19], v[51:52]
	v_fma_f64 v[43:44], v[180:181], s[4:5], v[182:183]
	v_fma_f64 v[154:155], v[39:40], s[10:11], v[154:155]
	;; [unrolled: 1-line block ×3, first 2 shown]
	v_add_f64_e64 v[39:40], v[53:54], -v[4:5]
	v_fma_f64 v[89:90], v[89:90], s[10:11], v[186:187]
	v_fma_f64 v[53:54], v[2:3], s[4:5], v[57:58]
	;; [unrolled: 1-line block ×5, first 2 shown]
	v_mul_f64_e32 v[79:80], s[22:23], v[75:76]
	v_mul_f64_e32 v[75:76], s[4:5], v[75:76]
	;; [unrolled: 1-line block ×3, first 2 shown]
	v_fma_f64 v[126:127], v[158:159], s[4:5], v[126:127]
	v_fma_f64 v[128:129], v[158:159], s[4:5], v[128:129]
	;; [unrolled: 1-line block ×4, first 2 shown]
	v_add_f64_e32 v[33:34], v[37:38], v[170:171]
	v_add_f64_e64 v[37:38], v[37:38], -v[170:171]
	v_fma_f64 v[136:137], v[192:193], s[4:5], v[136:137]
	v_fma_f64 v[120:121], v[209:210], s[20:21], v[120:121]
	;; [unrolled: 1-line block ×12, first 2 shown]
	v_mul_f64_e32 v[152:153], s[22:23], v[176:177]
	v_mul_f64_e32 v[158:159], s[20:21], v[59:60]
	;; [unrolled: 1-line block ×11, first 2 shown]
	v_fma_f64 v[130:131], v[93:94], s[18:19], v[130:131]
	v_fma_f64 v[51:52], v[93:94], s[10:11], v[51:52]
	;; [unrolled: 1-line block ×3, first 2 shown]
	v_mul_f64_e32 v[148:149], s[20:21], v[43:44]
	v_mul_f64_e32 v[43:44], s[18:19], v[43:44]
	v_fma_f64 v[180:181], v[146:147], s[4:5], v[65:66]
	v_fma_f64 v[65:66], v[174:175], s[4:5], v[89:90]
	;; [unrolled: 1-line block ×9, first 2 shown]
	v_mul_f64_e32 v[172:173], s[22:23], v[4:5]
	v_mul_f64_e32 v[176:177], s[4:5], v[4:5]
	;; [unrolled: 1-line block ×6, first 2 shown]
	v_fma_f64 v[75:76], v[8:9], s[16:17], v[152:153]
	v_fma_f64 v[152:153], v[8:9], s[12:13], v[160:161]
	;; [unrolled: 1-line block ×13, first 2 shown]
	v_add_f64_e32 v[0:1], v[53:54], v[130:131]
	v_add_f64_e64 v[4:5], v[53:54], -v[130:131]
	v_fma_f64 v[130:131], v[93:94], s[18:19], v[148:149]
	v_fma_f64 v[148:149], v[93:94], s[10:11], v[43:44]
	v_fma_f64 v[158:159], v[140:141], s[4:5], v[178:179]
	v_fma_f64 v[166:167], v[194:195], s[4:5], v[120:121]
	v_fma_f64 v[168:169], v[194:195], s[4:5], v[132:133]
	v_fma_f64 v[140:141], v[140:141], s[4:5], v[63:64]
	v_add_f64_e32 v[2:3], v[55:56], v[51:52]
	v_add_f64_e32 v[8:9], v[73:74], v[79:80]
	;; [unrolled: 1-line block ×3, first 2 shown]
	v_add_f64_e64 v[6:7], v[55:56], -v[51:52]
	v_add_f64_e64 v[41:42], v[73:74], -v[79:80]
	v_add_f64_e64 v[43:44], v[91:92], -v[57:58]
	v_fma_f64 v[162:163], v[164:165], s[4:5], v[172:173]
	v_fma_f64 v[164:165], v[164:165], s[12:13], v[176:177]
	;; [unrolled: 1-line block ×6, first 2 shown]
	v_add_f64_e32 v[45:46], v[124:125], v[75:76]
	v_add_f64_e32 v[47:48], v[134:135], v[152:153]
	v_add_f64_e64 v[49:50], v[124:125], -v[75:76]
	v_add_f64_e32 v[53:54], v[69:70], v[81:82]
	v_add_f64_e32 v[55:56], v[67:68], v[59:60]
	v_add_f64_e64 v[51:52], v[134:135], -v[152:153]
	v_add_f64_e64 v[57:58], v[69:70], -v[81:82]
	;; [unrolled: 1-line block ×3, first 2 shown]
	v_add_f64_e32 v[61:62], v[85:86], v[83:84]
	v_add_f64_e32 v[63:64], v[138:139], v[22:23]
	;; [unrolled: 1-line block ×4, first 2 shown]
	v_add_f64_e64 v[75:76], v[180:181], -v[77:78]
	v_add_f64_e32 v[77:78], v[142:143], v[126:127]
	v_add_f64_e32 v[79:80], v[146:147], v[101:102]
	v_add_f64_e64 v[65:66], v[85:86], -v[83:84]
	v_add_f64_e32 v[85:86], v[160:161], v[128:129]
	v_add_f64_e32 v[87:88], v[12:13], v[136:137]
	v_add_f64_e64 v[67:68], v[138:139], -v[22:23]
	v_add_f64_e64 v[73:74], v[122:123], -v[97:98]
	;; [unrolled: 1-line block ×6, first 2 shown]
	v_add_f64_e32 v[93:94], v[158:159], v[130:131]
	v_add_f64_e32 v[95:96], v[150:151], v[148:149]
	v_add_f64_e64 v[97:98], v[158:159], -v[130:131]
	v_add_f64_e64 v[99:100], v[150:151], -v[148:149]
	v_sub_nc_u32_e32 v12, 0, v105
	v_add_f64_e32 v[120:121], v[166:167], v[162:163]
	v_add_f64_e32 v[122:123], v[154:155], v[164:165]
	;; [unrolled: 1-line block ×6, first 2 shown]
	v_add_f64_e64 v[132:133], v[166:167], -v[162:163]
	v_add_f64_e64 v[134:135], v[154:155], -v[164:165]
	;; [unrolled: 1-line block ×6, first 2 shown]
	ds_store_b128 v196, v[0:3] offset:4800
	ds_store_b128 v196, v[8:11] offset:9600
	ds_store_b128 v196, v[45:48] offset:14400
	ds_store_b128 v196, v[53:56] offset:19200
	ds_store_b128 v196, v[14:17] offset:24000
	ds_store_b128 v196, v[4:7] offset:28800
	ds_store_b128 v196, v[41:44] offset:33600
	ds_store_b128 v196, v[49:52] offset:38400
	ds_store_b128 v196, v[18:21]
	ds_store_b128 v196, v[57:60] offset:43200
	ds_store_b128 v206, v[61:64] offset:4800
	ds_store_b128 v206, v[69:72] offset:9600
	ds_store_b128 v206, v[77:80] offset:14400
	ds_store_b128 v206, v[85:88] offset:19200
	ds_store_b128 v206, v[29:32] offset:24000
	ds_store_b128 v206, v[65:68] offset:28800
	ds_store_b128 v206, v[73:76] offset:33600
	ds_store_b128 v206, v[81:84] offset:38400
	ds_store_b128 v206, v[25:28]
	ds_store_b128 v206, v[89:92] offset:43200
	;; [unrolled: 10-line block ×3, first 2 shown]
	global_wb scope:SCOPE_SE
	s_wait_dscnt 0x0
	s_barrier_signal -1
	s_barrier_wait -1
	global_inv scope:SCOPE_SE
	ds_load_b128 v[4:7], v196
                                        ; implicit-def: $vgpr2_vgpr3
                                        ; implicit-def: $vgpr10_vgpr11
                                        ; implicit-def: $vgpr8_vgpr9
	v_cmpx_ne_u32_e32 0, v104
	s_wait_alu 0xfffe
	s_xor_b32 s1, exec_lo, s1
	s_cbranch_execz .LBB0_15
; %bb.14:
	v_mov_b32_e32 v105, v24
	s_delay_alu instid0(VALU_DEP_1) | instskip(NEXT) | instid1(VALU_DEP_1)
	v_lshlrev_b64_e32 v[0:1], 4, v[104:105]
	v_add_co_u32 v0, s0, s8, v0
	s_wait_alu 0xf1ff
	s_delay_alu instid0(VALU_DEP_2)
	v_add_co_ci_u32_e64 v1, s0, s9, v1, s0
	global_load_b128 v[8:11], v[0:1], off offset:47840
	ds_load_b128 v[0:3], v12 offset:48000
	s_wait_dscnt 0x0
	v_add_f64_e64 v[13:14], v[4:5], -v[0:1]
	v_add_f64_e32 v[15:16], v[6:7], v[2:3]
	v_add_f64_e64 v[2:3], v[6:7], -v[2:3]
	v_add_f64_e32 v[0:1], v[4:5], v[0:1]
	s_delay_alu instid0(VALU_DEP_4) | instskip(NEXT) | instid1(VALU_DEP_4)
	v_mul_f64_e32 v[6:7], 0.5, v[13:14]
	v_mul_f64_e32 v[4:5], 0.5, v[15:16]
	s_delay_alu instid0(VALU_DEP_4) | instskip(SKIP_1) | instid1(VALU_DEP_3)
	v_mul_f64_e32 v[2:3], 0.5, v[2:3]
	s_wait_loadcnt 0x0
	v_mul_f64_e32 v[13:14], v[6:7], v[10:11]
	s_delay_alu instid0(VALU_DEP_2) | instskip(SKIP_1) | instid1(VALU_DEP_3)
	v_fma_f64 v[15:16], v[4:5], v[10:11], v[2:3]
	v_fma_f64 v[2:3], v[4:5], v[10:11], -v[2:3]
	v_fma_f64 v[17:18], v[0:1], 0.5, v[13:14]
	v_fma_f64 v[0:1], v[0:1], 0.5, -v[13:14]
	s_delay_alu instid0(VALU_DEP_4) | instskip(NEXT) | instid1(VALU_DEP_4)
	v_fma_f64 v[10:11], -v[8:9], v[6:7], v[15:16]
	v_fma_f64 v[2:3], -v[8:9], v[6:7], v[2:3]
	s_delay_alu instid0(VALU_DEP_4) | instskip(NEXT) | instid1(VALU_DEP_4)
	v_fma_f64 v[13:14], v[4:5], v[8:9], v[17:18]
	v_fma_f64 v[0:1], -v[4:5], v[8:9], v[0:1]
	v_dual_mov_b32 v8, v104 :: v_dual_mov_b32 v9, v105
                                        ; implicit-def: $vgpr4_vgpr5
	ds_store_b64 v196, v[13:14]
.LBB0_15:
	s_wait_alu 0xfffe
	s_or_saveexec_b32 s0, s1
	v_mul_i32_i24_e32 v14, 0xffffff70, v106
	v_mul_i32_i24_e32 v13, 0xffffff70, v119
	s_wait_alu 0xfffe
	s_xor_b32 exec_lo, exec_lo, s0
	s_cbranch_execz .LBB0_17
; %bb.16:
	s_wait_dscnt 0x0
	v_add_f64_e32 v[15:16], v[4:5], v[6:7]
	v_add_f64_e64 v[0:1], v[4:5], -v[6:7]
	v_mov_b32_e32 v6, 0
	v_mov_b32_e32 v10, 0
	v_dual_mov_b32 v11, 0 :: v_dual_mov_b32 v8, 0
	s_delay_alu instid0(VALU_DEP_2)
	v_mov_b32_e32 v2, v10
	ds_load_b64 v[4:5], v6 offset:24008
	v_mov_b32_e32 v9, 0
	v_mov_b32_e32 v3, v11
	s_wait_dscnt 0x0
	v_xor_b32_e32 v5, 0x80000000, v5
	ds_store_b64 v196, v[15:16]
	ds_store_b64 v6, v[4:5] offset:24008
.LBB0_17:
	s_or_b32 exec_lo, exec_lo, s0
	v_dual_mov_b32 v107, 0 :: v_dual_add_nc_u32 v14, v197, v14
	v_lshlrev_b64_e32 v[8:9], 4, v[8:9]
	s_wait_dscnt 0x0
	s_delay_alu instid0(VALU_DEP_2) | instskip(SKIP_1) | instid1(VALU_DEP_1)
	v_lshlrev_b64_e32 v[4:5], 4, v[106:107]
	v_mov_b32_e32 v120, v107
	v_lshlrev_b64_e32 v[15:16], 4, v[119:120]
	v_mov_b32_e32 v119, v107
	s_delay_alu instid0(VALU_DEP_4) | instskip(SKIP_2) | instid1(VALU_DEP_4)
	v_add_co_u32 v4, s0, s8, v4
	s_wait_alu 0xf1ff
	v_add_co_ci_u32_e64 v5, s0, s9, v5, s0
	v_add_co_u32 v15, s0, s8, v15
	s_wait_alu 0xf1ff
	v_add_co_ci_u32_e64 v16, s0, s9, v16, s0
	s_clause 0x1
	global_load_b128 v[4:7], v[4:5], off offset:47840
	global_load_b128 v[15:18], v[15:16], off offset:47840
	ds_store_b64 v196, v[10:11] offset:8
	ds_store_b128 v12, v[0:3] offset:48000
	ds_load_b128 v[0:3], v14
	ds_load_b128 v[19:22], v12 offset:46400
	s_wait_dscnt 0x0
	v_add_f64_e64 v[10:11], v[0:1], -v[19:20]
	v_add_f64_e32 v[23:24], v[2:3], v[21:22]
	v_add_f64_e64 v[2:3], v[2:3], -v[21:22]
	v_add_f64_e32 v[0:1], v[0:1], v[19:20]
	s_delay_alu instid0(VALU_DEP_4) | instskip(NEXT) | instid1(VALU_DEP_4)
	v_mul_f64_e32 v[10:11], 0.5, v[10:11]
	v_mul_f64_e32 v[21:22], 0.5, v[23:24]
	s_delay_alu instid0(VALU_DEP_4) | instskip(SKIP_1) | instid1(VALU_DEP_3)
	v_mul_f64_e32 v[2:3], 0.5, v[2:3]
	s_wait_loadcnt 0x1
	v_mul_f64_e32 v[19:20], v[10:11], v[6:7]
	s_delay_alu instid0(VALU_DEP_2) | instskip(SKIP_1) | instid1(VALU_DEP_3)
	v_fma_f64 v[23:24], v[21:22], v[6:7], v[2:3]
	v_fma_f64 v[6:7], v[21:22], v[6:7], -v[2:3]
	v_fma_f64 v[25:26], v[0:1], 0.5, v[19:20]
	v_fma_f64 v[19:20], v[0:1], 0.5, -v[19:20]
	s_delay_alu instid0(VALU_DEP_4) | instskip(NEXT) | instid1(VALU_DEP_4)
	v_fma_f64 v[2:3], -v[4:5], v[10:11], v[23:24]
	v_fma_f64 v[6:7], -v[4:5], v[10:11], v[6:7]
	v_lshlrev_b64_e32 v[10:11], 4, v[118:119]
	v_mov_b32_e32 v118, v107
	s_delay_alu instid0(VALU_DEP_2) | instskip(SKIP_1) | instid1(VALU_DEP_3)
	v_add_co_u32 v10, s0, s8, v10
	s_wait_alu 0xf1ff
	v_add_co_ci_u32_e64 v11, s0, s9, v11, s0
	v_fma_f64 v[0:1], v[21:22], v[4:5], v[25:26]
	v_fma_f64 v[4:5], -v[21:22], v[4:5], v[19:20]
	global_load_b128 v[19:22], v[10:11], off offset:47840
	v_add_nc_u32_e32 v25, v198, v13
	ds_store_b128 v14, v[0:3]
	ds_store_b128 v12, v[4:7] offset:46400
	ds_load_b128 v[0:3], v25
	ds_load_b128 v[4:7], v12 offset:44800
	s_wait_dscnt 0x0
	v_add_f64_e64 v[10:11], v[0:1], -v[4:5]
	v_add_f64_e32 v[13:14], v[2:3], v[6:7]
	v_add_f64_e64 v[2:3], v[2:3], -v[6:7]
	v_add_f64_e32 v[0:1], v[0:1], v[4:5]
	s_delay_alu instid0(VALU_DEP_4) | instskip(NEXT) | instid1(VALU_DEP_4)
	v_mul_f64_e32 v[6:7], 0.5, v[10:11]
	v_mul_f64_e32 v[10:11], 0.5, v[13:14]
	s_delay_alu instid0(VALU_DEP_4) | instskip(SKIP_1) | instid1(VALU_DEP_3)
	v_mul_f64_e32 v[2:3], 0.5, v[2:3]
	s_wait_loadcnt 0x1
	v_mul_f64_e32 v[4:5], v[6:7], v[17:18]
	s_delay_alu instid0(VALU_DEP_2) | instskip(SKIP_1) | instid1(VALU_DEP_3)
	v_fma_f64 v[13:14], v[10:11], v[17:18], v[2:3]
	v_fma_f64 v[17:18], v[10:11], v[17:18], -v[2:3]
	v_fma_f64 v[23:24], v[0:1], 0.5, v[4:5]
	v_fma_f64 v[4:5], v[0:1], 0.5, -v[4:5]
	s_delay_alu instid0(VALU_DEP_4) | instskip(NEXT) | instid1(VALU_DEP_4)
	v_fma_f64 v[2:3], -v[15:16], v[6:7], v[13:14]
	v_fma_f64 v[6:7], -v[15:16], v[6:7], v[17:18]
	s_delay_alu instid0(VALU_DEP_4) | instskip(NEXT) | instid1(VALU_DEP_4)
	v_fma_f64 v[0:1], v[10:11], v[15:16], v[23:24]
	v_fma_f64 v[4:5], -v[10:11], v[15:16], v[4:5]
	v_lshlrev_b64_e32 v[10:11], 4, v[117:118]
	v_mov_b32_e32 v117, v107
	s_delay_alu instid0(VALU_DEP_2) | instskip(SKIP_1) | instid1(VALU_DEP_3)
	v_add_co_u32 v10, s0, s8, v10
	s_wait_alu 0xf1ff
	v_add_co_ci_u32_e64 v11, s0, s9, v11, s0
	global_load_b128 v[13:16], v[10:11], off offset:47840
	ds_store_b128 v25, v[0:3]
	ds_store_b128 v12, v[4:7] offset:44800
	ds_load_b128 v[0:3], v200
	ds_load_b128 v[4:7], v12 offset:43200
	s_wait_dscnt 0x0
	v_add_f64_e64 v[10:11], v[0:1], -v[4:5]
	v_add_f64_e32 v[17:18], v[2:3], v[6:7]
	v_add_f64_e64 v[2:3], v[2:3], -v[6:7]
	v_add_f64_e32 v[0:1], v[0:1], v[4:5]
	s_delay_alu instid0(VALU_DEP_4) | instskip(NEXT) | instid1(VALU_DEP_4)
	v_mul_f64_e32 v[6:7], 0.5, v[10:11]
	v_mul_f64_e32 v[10:11], 0.5, v[17:18]
	s_delay_alu instid0(VALU_DEP_4) | instskip(SKIP_1) | instid1(VALU_DEP_3)
	v_mul_f64_e32 v[2:3], 0.5, v[2:3]
	s_wait_loadcnt 0x1
	v_mul_f64_e32 v[4:5], v[6:7], v[21:22]
	s_delay_alu instid0(VALU_DEP_2) | instskip(SKIP_1) | instid1(VALU_DEP_3)
	v_fma_f64 v[17:18], v[10:11], v[21:22], v[2:3]
	v_fma_f64 v[21:22], v[10:11], v[21:22], -v[2:3]
	v_fma_f64 v[23:24], v[0:1], 0.5, v[4:5]
	v_fma_f64 v[4:5], v[0:1], 0.5, -v[4:5]
	s_delay_alu instid0(VALU_DEP_4) | instskip(NEXT) | instid1(VALU_DEP_4)
	v_fma_f64 v[2:3], -v[19:20], v[6:7], v[17:18]
	v_fma_f64 v[6:7], -v[19:20], v[6:7], v[21:22]
	s_delay_alu instid0(VALU_DEP_4) | instskip(NEXT) | instid1(VALU_DEP_4)
	v_fma_f64 v[0:1], v[10:11], v[19:20], v[23:24]
	v_fma_f64 v[4:5], -v[10:11], v[19:20], v[4:5]
	v_lshlrev_b64_e32 v[10:11], 4, v[116:117]
	v_mov_b32_e32 v116, v107
	s_delay_alu instid0(VALU_DEP_2) | instskip(SKIP_1) | instid1(VALU_DEP_3)
	v_add_co_u32 v10, s0, s8, v10
	s_wait_alu 0xf1ff
	v_add_co_ci_u32_e64 v11, s0, s9, v11, s0
	global_load_b128 v[17:20], v[10:11], off offset:47840
	;; [unrolled: 34-line block ×5, first 2 shown]
	ds_store_b128 v203, v[0:3]
	ds_store_b128 v12, v[4:7] offset:38400
	ds_load_b128 v[0:3], v202
	ds_load_b128 v[4:7], v12 offset:36800
	s_wait_dscnt 0x0
	v_add_f64_e64 v[10:11], v[0:1], -v[4:5]
	v_add_f64_e32 v[21:22], v[2:3], v[6:7]
	v_add_f64_e64 v[2:3], v[2:3], -v[6:7]
	v_add_f64_e32 v[0:1], v[0:1], v[4:5]
	s_delay_alu instid0(VALU_DEP_4) | instskip(NEXT) | instid1(VALU_DEP_4)
	v_mul_f64_e32 v[6:7], 0.5, v[10:11]
	v_mul_f64_e32 v[10:11], 0.5, v[21:22]
	s_delay_alu instid0(VALU_DEP_4) | instskip(SKIP_1) | instid1(VALU_DEP_3)
	v_mul_f64_e32 v[2:3], 0.5, v[2:3]
	s_wait_loadcnt 0x1
	v_mul_f64_e32 v[4:5], v[6:7], v[19:20]
	s_delay_alu instid0(VALU_DEP_2) | instskip(SKIP_1) | instid1(VALU_DEP_3)
	v_fma_f64 v[21:22], v[10:11], v[19:20], v[2:3]
	v_fma_f64 v[19:20], v[10:11], v[19:20], -v[2:3]
	v_fma_f64 v[23:24], v[0:1], 0.5, v[4:5]
	v_fma_f64 v[4:5], v[0:1], 0.5, -v[4:5]
	s_delay_alu instid0(VALU_DEP_4) | instskip(NEXT) | instid1(VALU_DEP_4)
	v_fma_f64 v[2:3], -v[17:18], v[6:7], v[21:22]
	v_fma_f64 v[6:7], -v[17:18], v[6:7], v[19:20]
	s_delay_alu instid0(VALU_DEP_4) | instskip(NEXT) | instid1(VALU_DEP_4)
	v_fma_f64 v[0:1], v[10:11], v[17:18], v[23:24]
	v_fma_f64 v[4:5], -v[10:11], v[17:18], v[4:5]
	v_lshlrev_b64_e32 v[10:11], 4, v[112:113]
	s_delay_alu instid0(VALU_DEP_1) | instskip(SKIP_1) | instid1(VALU_DEP_2)
	v_add_co_u32 v10, s0, s8, v10
	s_wait_alu 0xf1ff
	v_add_co_ci_u32_e64 v11, s0, s9, v11, s0
	s_add_nc_u64 s[0:1], s[8:9], 0xbae0
	global_load_b128 v[17:20], v[10:11], off offset:47840
	ds_store_b128 v202, v[0:3]
	ds_store_b128 v12, v[4:7] offset:36800
	ds_load_b128 v[0:3], v201
	ds_load_b128 v[4:7], v12 offset:35200
	s_wait_dscnt 0x0
	v_add_f64_e64 v[10:11], v[0:1], -v[4:5]
	v_add_f64_e32 v[21:22], v[2:3], v[6:7]
	v_add_f64_e64 v[2:3], v[2:3], -v[6:7]
	v_add_f64_e32 v[0:1], v[0:1], v[4:5]
	s_delay_alu instid0(VALU_DEP_4) | instskip(NEXT) | instid1(VALU_DEP_4)
	v_mul_f64_e32 v[6:7], 0.5, v[10:11]
	v_mul_f64_e32 v[10:11], 0.5, v[21:22]
	s_delay_alu instid0(VALU_DEP_4) | instskip(SKIP_1) | instid1(VALU_DEP_3)
	v_mul_f64_e32 v[2:3], 0.5, v[2:3]
	s_wait_loadcnt 0x1
	v_mul_f64_e32 v[4:5], v[6:7], v[15:16]
	s_delay_alu instid0(VALU_DEP_2) | instskip(SKIP_1) | instid1(VALU_DEP_3)
	v_fma_f64 v[21:22], v[10:11], v[15:16], v[2:3]
	v_fma_f64 v[15:16], v[10:11], v[15:16], -v[2:3]
	v_fma_f64 v[23:24], v[0:1], 0.5, v[4:5]
	v_fma_f64 v[4:5], v[0:1], 0.5, -v[4:5]
	s_delay_alu instid0(VALU_DEP_4) | instskip(NEXT) | instid1(VALU_DEP_4)
	v_fma_f64 v[2:3], -v[13:14], v[6:7], v[21:22]
	v_fma_f64 v[6:7], -v[13:14], v[6:7], v[15:16]
	s_wait_alu 0xfffe
	v_add_co_u32 v21, s0, s0, v8
	s_wait_alu 0xf1ff
	v_add_co_ci_u32_e64 v22, s0, s1, v9, s0
	v_fma_f64 v[0:1], v[10:11], v[13:14], v[23:24]
	v_fma_f64 v[4:5], -v[10:11], v[13:14], v[4:5]
	global_load_b128 v[8:11], v[21:22], off offset:16000
	ds_store_b128 v201, v[0:3]
	ds_store_b128 v12, v[4:7] offset:35200
	ds_load_b128 v[0:3], v199
	ds_load_b128 v[4:7], v12 offset:33600
	s_wait_dscnt 0x0
	v_add_f64_e64 v[13:14], v[0:1], -v[4:5]
	v_add_f64_e32 v[15:16], v[2:3], v[6:7]
	v_add_f64_e64 v[2:3], v[2:3], -v[6:7]
	v_add_f64_e32 v[0:1], v[0:1], v[4:5]
	s_delay_alu instid0(VALU_DEP_4) | instskip(NEXT) | instid1(VALU_DEP_4)
	v_mul_f64_e32 v[6:7], 0.5, v[13:14]
	v_mul_f64_e32 v[13:14], 0.5, v[15:16]
	s_delay_alu instid0(VALU_DEP_4) | instskip(SKIP_1) | instid1(VALU_DEP_3)
	v_mul_f64_e32 v[2:3], 0.5, v[2:3]
	s_wait_loadcnt 0x1
	v_mul_f64_e32 v[4:5], v[6:7], v[19:20]
	s_delay_alu instid0(VALU_DEP_2) | instskip(SKIP_1) | instid1(VALU_DEP_3)
	v_fma_f64 v[15:16], v[13:14], v[19:20], v[2:3]
	v_fma_f64 v[19:20], v[13:14], v[19:20], -v[2:3]
	v_fma_f64 v[23:24], v[0:1], 0.5, v[4:5]
	v_fma_f64 v[4:5], v[0:1], 0.5, -v[4:5]
	s_delay_alu instid0(VALU_DEP_4) | instskip(NEXT) | instid1(VALU_DEP_4)
	v_fma_f64 v[2:3], -v[17:18], v[6:7], v[15:16]
	v_fma_f64 v[6:7], -v[17:18], v[6:7], v[19:20]
	s_delay_alu instid0(VALU_DEP_4) | instskip(NEXT) | instid1(VALU_DEP_4)
	v_fma_f64 v[0:1], v[13:14], v[17:18], v[23:24]
	v_fma_f64 v[4:5], -v[13:14], v[17:18], v[4:5]
	global_load_b128 v[13:16], v[21:22], off offset:17600
	ds_store_b128 v199, v[0:3]
	ds_store_b128 v12, v[4:7] offset:33600
	ds_load_b128 v[0:3], v196 offset:16000
	ds_load_b128 v[4:7], v12 offset:32000
	s_wait_dscnt 0x0
	v_add_f64_e64 v[17:18], v[0:1], -v[4:5]
	v_add_f64_e32 v[19:20], v[2:3], v[6:7]
	v_add_f64_e64 v[2:3], v[2:3], -v[6:7]
	v_add_f64_e32 v[0:1], v[0:1], v[4:5]
	s_delay_alu instid0(VALU_DEP_4) | instskip(NEXT) | instid1(VALU_DEP_4)
	v_mul_f64_e32 v[6:7], 0.5, v[17:18]
	v_mul_f64_e32 v[17:18], 0.5, v[19:20]
	s_delay_alu instid0(VALU_DEP_4) | instskip(SKIP_1) | instid1(VALU_DEP_3)
	v_mul_f64_e32 v[2:3], 0.5, v[2:3]
	s_wait_loadcnt 0x1
	v_mul_f64_e32 v[4:5], v[6:7], v[10:11]
	s_delay_alu instid0(VALU_DEP_2) | instskip(SKIP_1) | instid1(VALU_DEP_3)
	v_fma_f64 v[19:20], v[17:18], v[10:11], v[2:3]
	v_fma_f64 v[10:11], v[17:18], v[10:11], -v[2:3]
	v_fma_f64 v[23:24], v[0:1], 0.5, v[4:5]
	v_fma_f64 v[4:5], v[0:1], 0.5, -v[4:5]
	s_delay_alu instid0(VALU_DEP_4) | instskip(NEXT) | instid1(VALU_DEP_4)
	v_fma_f64 v[2:3], -v[8:9], v[6:7], v[19:20]
	v_fma_f64 v[6:7], -v[8:9], v[6:7], v[10:11]
	s_delay_alu instid0(VALU_DEP_4) | instskip(NEXT) | instid1(VALU_DEP_4)
	v_fma_f64 v[0:1], v[17:18], v[8:9], v[23:24]
	v_fma_f64 v[4:5], -v[17:18], v[8:9], v[4:5]
	global_load_b128 v[8:11], v[21:22], off offset:19200
	ds_store_b128 v196, v[0:3] offset:16000
	ds_store_b128 v12, v[4:7] offset:32000
	ds_load_b128 v[0:3], v196 offset:17600
	ds_load_b128 v[4:7], v12 offset:30400
	s_wait_dscnt 0x0
	v_add_f64_e64 v[17:18], v[0:1], -v[4:5]
	v_add_f64_e32 v[19:20], v[2:3], v[6:7]
	v_add_f64_e64 v[2:3], v[2:3], -v[6:7]
	v_add_f64_e32 v[0:1], v[0:1], v[4:5]
	s_delay_alu instid0(VALU_DEP_4) | instskip(NEXT) | instid1(VALU_DEP_4)
	v_mul_f64_e32 v[6:7], 0.5, v[17:18]
	v_mul_f64_e32 v[17:18], 0.5, v[19:20]
	s_delay_alu instid0(VALU_DEP_4) | instskip(SKIP_1) | instid1(VALU_DEP_3)
	v_mul_f64_e32 v[2:3], 0.5, v[2:3]
	s_wait_loadcnt 0x1
	v_mul_f64_e32 v[4:5], v[6:7], v[15:16]
	s_delay_alu instid0(VALU_DEP_2) | instskip(SKIP_1) | instid1(VALU_DEP_3)
	v_fma_f64 v[19:20], v[17:18], v[15:16], v[2:3]
	v_fma_f64 v[15:16], v[17:18], v[15:16], -v[2:3]
	v_fma_f64 v[23:24], v[0:1], 0.5, v[4:5]
	v_fma_f64 v[4:5], v[0:1], 0.5, -v[4:5]
	s_delay_alu instid0(VALU_DEP_4) | instskip(NEXT) | instid1(VALU_DEP_4)
	v_fma_f64 v[2:3], -v[13:14], v[6:7], v[19:20]
	v_fma_f64 v[6:7], -v[13:14], v[6:7], v[15:16]
	s_delay_alu instid0(VALU_DEP_4) | instskip(NEXT) | instid1(VALU_DEP_4)
	v_fma_f64 v[0:1], v[17:18], v[13:14], v[23:24]
	v_fma_f64 v[4:5], -v[17:18], v[13:14], v[4:5]
	global_load_b128 v[13:16], v[21:22], off offset:20800
	ds_store_b128 v196, v[0:3] offset:17600
	;; [unrolled: 28-line block ×3, first 2 shown]
	ds_store_b128 v12, v[4:7] offset:28800
	ds_load_b128 v[0:3], v196 offset:20800
	ds_load_b128 v[4:7], v12 offset:27200
	s_wait_dscnt 0x0
	v_add_f64_e64 v[17:18], v[0:1], -v[4:5]
	v_add_f64_e32 v[19:20], v[2:3], v[6:7]
	v_add_f64_e64 v[2:3], v[2:3], -v[6:7]
	v_add_f64_e32 v[0:1], v[0:1], v[4:5]
	s_delay_alu instid0(VALU_DEP_4) | instskip(NEXT) | instid1(VALU_DEP_4)
	v_mul_f64_e32 v[6:7], 0.5, v[17:18]
	v_mul_f64_e32 v[17:18], 0.5, v[19:20]
	s_delay_alu instid0(VALU_DEP_4) | instskip(SKIP_1) | instid1(VALU_DEP_3)
	v_mul_f64_e32 v[2:3], 0.5, v[2:3]
	s_wait_loadcnt 0x1
	v_mul_f64_e32 v[4:5], v[6:7], v[15:16]
	s_delay_alu instid0(VALU_DEP_2) | instskip(SKIP_1) | instid1(VALU_DEP_3)
	v_fma_f64 v[19:20], v[17:18], v[15:16], v[2:3]
	v_fma_f64 v[15:16], v[17:18], v[15:16], -v[2:3]
	v_fma_f64 v[21:22], v[0:1], 0.5, v[4:5]
	v_fma_f64 v[4:5], v[0:1], 0.5, -v[4:5]
	s_delay_alu instid0(VALU_DEP_4) | instskip(NEXT) | instid1(VALU_DEP_4)
	v_fma_f64 v[2:3], -v[13:14], v[6:7], v[19:20]
	v_fma_f64 v[6:7], -v[13:14], v[6:7], v[15:16]
	s_delay_alu instid0(VALU_DEP_4) | instskip(NEXT) | instid1(VALU_DEP_4)
	v_fma_f64 v[0:1], v[17:18], v[13:14], v[21:22]
	v_fma_f64 v[4:5], -v[17:18], v[13:14], v[4:5]
	ds_store_b128 v196, v[0:3] offset:20800
	ds_store_b128 v12, v[4:7] offset:27200
	ds_load_b128 v[0:3], v196 offset:22400
	ds_load_b128 v[4:7], v12 offset:25600
	s_wait_dscnt 0x0
	v_add_f64_e64 v[13:14], v[0:1], -v[4:5]
	v_add_f64_e32 v[15:16], v[2:3], v[6:7]
	v_add_f64_e64 v[2:3], v[2:3], -v[6:7]
	v_add_f64_e32 v[0:1], v[0:1], v[4:5]
	s_delay_alu instid0(VALU_DEP_4) | instskip(NEXT) | instid1(VALU_DEP_4)
	v_mul_f64_e32 v[6:7], 0.5, v[13:14]
	v_mul_f64_e32 v[13:14], 0.5, v[15:16]
	s_delay_alu instid0(VALU_DEP_4) | instskip(SKIP_1) | instid1(VALU_DEP_3)
	v_mul_f64_e32 v[2:3], 0.5, v[2:3]
	s_wait_loadcnt 0x0
	v_mul_f64_e32 v[4:5], v[6:7], v[10:11]
	s_delay_alu instid0(VALU_DEP_2) | instskip(SKIP_1) | instid1(VALU_DEP_3)
	v_fma_f64 v[15:16], v[13:14], v[10:11], v[2:3]
	v_fma_f64 v[10:11], v[13:14], v[10:11], -v[2:3]
	v_fma_f64 v[17:18], v[0:1], 0.5, v[4:5]
	v_fma_f64 v[4:5], v[0:1], 0.5, -v[4:5]
	s_delay_alu instid0(VALU_DEP_4) | instskip(NEXT) | instid1(VALU_DEP_4)
	v_fma_f64 v[2:3], -v[8:9], v[6:7], v[15:16]
	v_fma_f64 v[6:7], -v[8:9], v[6:7], v[10:11]
	s_delay_alu instid0(VALU_DEP_4) | instskip(NEXT) | instid1(VALU_DEP_4)
	v_fma_f64 v[0:1], v[13:14], v[8:9], v[17:18]
	v_fma_f64 v[4:5], -v[13:14], v[8:9], v[4:5]
	ds_store_b128 v196, v[0:3] offset:22400
	ds_store_b128 v12, v[4:7] offset:25600
	global_wb scope:SCOPE_SE
	s_wait_dscnt 0x0
	s_barrier_signal -1
	s_barrier_wait -1
	global_inv scope:SCOPE_SE
	s_and_saveexec_b32 s0, vcc_lo
	s_cbranch_execz .LBB0_20
; %bb.18:
	v_mul_lo_u32 v2, s3, v110
	v_mul_lo_u32 v3, s2, v111
	v_mad_co_u64_u32 v[0:1], null, s2, v110, 0
	v_lshl_add_u32 v32, v104, 4, 0
	v_dual_mov_b32 v105, v107 :: v_dual_add_nc_u32 v106, 0x64, v104
	v_lshlrev_b64_e32 v[10:11], 4, v[108:109]
	ds_load_b128 v[6:9], v32 offset:1600
	v_add3_u32 v1, v1, v3, v2
	ds_load_b128 v[2:5], v32
	v_lshlrev_b64_e32 v[12:13], 4, v[104:105]
	v_lshlrev_b64_e32 v[14:15], 4, v[106:107]
	v_add_nc_u32_e32 v106, 0xc8, v104
	v_lshlrev_b64_e32 v[0:1], 4, v[0:1]
	s_delay_alu instid0(VALU_DEP_2) | instskip(SKIP_1) | instid1(VALU_DEP_3)
	v_lshlrev_b64_e32 v[22:23], 4, v[106:107]
	v_add_nc_u32_e32 v106, 0x12c, v104
	v_add_co_u32 v0, vcc_lo, s6, v0
	s_wait_alu 0xfffd
	s_delay_alu instid0(VALU_DEP_4) | instskip(NEXT) | instid1(VALU_DEP_3)
	v_add_co_ci_u32_e32 v1, vcc_lo, s7, v1, vcc_lo
	v_lshlrev_b64_e32 v[24:25], 4, v[106:107]
	s_delay_alu instid0(VALU_DEP_3) | instskip(SKIP_1) | instid1(VALU_DEP_3)
	v_add_co_u32 v0, vcc_lo, v0, v10
	s_wait_alu 0xfffd
	v_add_co_ci_u32_e32 v1, vcc_lo, v1, v11, vcc_lo
	v_add_nc_u32_e32 v106, 0x190, v104
	s_delay_alu instid0(VALU_DEP_3) | instskip(SKIP_1) | instid1(VALU_DEP_3)
	v_add_co_u32 v18, vcc_lo, v0, v12
	s_wait_alu 0xfffd
	v_add_co_ci_u32_e32 v19, vcc_lo, v1, v13, vcc_lo
	v_add_co_u32 v20, vcc_lo, v0, v14
	s_wait_alu 0xfffd
	v_add_co_ci_u32_e32 v21, vcc_lo, v1, v15, vcc_lo
	ds_load_b128 v[10:13], v32 offset:3200
	ds_load_b128 v[14:17], v32 offset:46400
	s_wait_dscnt 0x2
	s_clause 0x1
	global_store_b128 v[18:19], v[2:5], off
	global_store_b128 v[20:21], v[6:9], off
	ds_load_b128 v[2:5], v32 offset:4800
	ds_load_b128 v[6:9], v32 offset:6400
	;; [unrolled: 1-line block ×3, first 2 shown]
	v_lshlrev_b64_e32 v[26:27], 4, v[106:107]
	v_add_nc_u32_e32 v106, 0x1f4, v104
	v_add_co_u32 v22, vcc_lo, v0, v22
	s_wait_alu 0xfffd
	v_add_co_ci_u32_e32 v23, vcc_lo, v1, v23, vcc_lo
	v_add_co_u32 v24, vcc_lo, v0, v24
	v_lshlrev_b64_e32 v[28:29], 4, v[106:107]
	v_add_nc_u32_e32 v106, 0x258, v104
	s_wait_alu 0xfffd
	v_add_co_ci_u32_e32 v25, vcc_lo, v1, v25, vcc_lo
	v_add_co_u32 v26, vcc_lo, v0, v26
	s_wait_alu 0xfffd
	v_add_co_ci_u32_e32 v27, vcc_lo, v1, v27, vcc_lo
	v_add_co_u32 v28, vcc_lo, v0, v28
	v_lshlrev_b64_e32 v[30:31], 4, v[106:107]
	v_add_nc_u32_e32 v106, 0x2bc, v104
	s_wait_alu 0xfffd
	v_add_co_ci_u32_e32 v29, vcc_lo, v1, v29, vcc_lo
	s_wait_dscnt 0x4
	global_store_b128 v[22:23], v[10:13], off
	s_wait_dscnt 0x2
	global_store_b128 v[24:25], v[2:5], off
	ds_load_b128 v[2:5], v32 offset:9600
	v_lshlrev_b64_e32 v[22:23], 4, v[106:107]
	v_add_nc_u32_e32 v106, 0x320, v104
	s_wait_dscnt 0x2
	global_store_b128 v[26:27], v[6:9], off
	s_wait_dscnt 0x1
	global_store_b128 v[28:29], v[18:21], off
	ds_load_b128 v[6:9], v32 offset:11200
	ds_load_b128 v[10:13], v32 offset:12800
	ds_load_b128 v[18:21], v32 offset:14400
	v_add_co_u32 v24, vcc_lo, v0, v30
	v_lshlrev_b64_e32 v[26:27], 4, v[106:107]
	v_add_nc_u32_e32 v106, 0x384, v104
	s_wait_alu 0xfffd
	v_add_co_ci_u32_e32 v25, vcc_lo, v1, v31, vcc_lo
	v_add_co_u32 v22, vcc_lo, v0, v22
	s_delay_alu instid0(VALU_DEP_3)
	v_lshlrev_b64_e32 v[28:29], 4, v[106:107]
	v_add_nc_u32_e32 v106, 0x3e8, v104
	s_wait_alu 0xfffd
	v_add_co_ci_u32_e32 v23, vcc_lo, v1, v23, vcc_lo
	v_add_co_u32 v26, vcc_lo, v0, v26
	s_wait_alu 0xfffd
	v_add_co_ci_u32_e32 v27, vcc_lo, v1, v27, vcc_lo
	v_add_co_u32 v28, vcc_lo, v0, v28
	v_lshlrev_b64_e32 v[30:31], 4, v[106:107]
	v_add_nc_u32_e32 v106, 0x44c, v104
	s_wait_alu 0xfffd
	v_add_co_ci_u32_e32 v29, vcc_lo, v1, v29, vcc_lo
	s_wait_dscnt 0x3
	global_store_b128 v[24:25], v[2:5], off
	s_wait_dscnt 0x2
	global_store_b128 v[22:23], v[6:9], off
	ds_load_b128 v[2:5], v32 offset:16000
	v_lshlrev_b64_e32 v[22:23], 4, v[106:107]
	v_add_nc_u32_e32 v106, 0x4b0, v104
	s_wait_dscnt 0x2
	global_store_b128 v[26:27], v[10:13], off
	s_wait_dscnt 0x1
	global_store_b128 v[28:29], v[18:21], off
	ds_load_b128 v[6:9], v32 offset:17600
	ds_load_b128 v[10:13], v32 offset:19200
	ds_load_b128 v[18:21], v32 offset:20800
	v_add_co_u32 v24, vcc_lo, v0, v30
	v_lshlrev_b64_e32 v[26:27], 4, v[106:107]
	v_add_nc_u32_e32 v106, 0x514, v104
	s_wait_alu 0xfffd
	v_add_co_ci_u32_e32 v25, vcc_lo, v1, v31, vcc_lo
	v_add_co_u32 v22, vcc_lo, v0, v22
	s_delay_alu instid0(VALU_DEP_3)
	;; [unrolled: 33-line block ×5, first 2 shown]
	v_lshlrev_b64_e32 v[28:29], 4, v[106:107]
	s_wait_alu 0xfffd
	v_add_co_ci_u32_e32 v23, vcc_lo, v1, v23, vcc_lo
	v_add_nc_u32_e32 v106, 0xa28, v104
	v_add_co_u32 v26, vcc_lo, v0, v26
	s_wait_alu 0xfffd
	v_add_co_ci_u32_e32 v27, vcc_lo, v1, v27, vcc_lo
	v_add_co_u32 v28, vcc_lo, v0, v28
	v_lshlrev_b64_e32 v[30:31], 4, v[106:107]
	v_add_nc_u32_e32 v106, 0xa8c, v104
	s_wait_alu 0xfffd
	v_add_co_ci_u32_e32 v29, vcc_lo, v1, v29, vcc_lo
	s_wait_dscnt 0x3
	global_store_b128 v[24:25], v[2:5], off
	s_wait_dscnt 0x2
	global_store_b128 v[22:23], v[6:9], off
	ds_load_b128 v[2:5], v32 offset:41600
	s_wait_dscnt 0x2
	global_store_b128 v[26:27], v[10:13], off
	s_wait_dscnt 0x1
	global_store_b128 v[28:29], v[18:21], off
	v_lshlrev_b64_e32 v[18:19], 4, v[106:107]
	v_add_nc_u32_e32 v106, 0xaf0, v104
	ds_load_b128 v[6:9], v32 offset:43200
	ds_load_b128 v[10:13], v32 offset:44800
	v_add_co_u32 v20, vcc_lo, v0, v30
	s_wait_alu 0xfffd
	v_add_co_ci_u32_e32 v21, vcc_lo, v1, v31, vcc_lo
	v_lshlrev_b64_e32 v[22:23], 4, v[106:107]
	v_add_nc_u32_e32 v106, 0xb54, v104
	v_add_co_u32 v18, vcc_lo, v0, v18
	s_wait_alu 0xfffd
	v_add_co_ci_u32_e32 v19, vcc_lo, v1, v19, vcc_lo
	s_delay_alu instid0(VALU_DEP_3) | instskip(SKIP_3) | instid1(VALU_DEP_3)
	v_lshlrev_b64_e32 v[24:25], 4, v[106:107]
	v_add_co_u32 v22, vcc_lo, v0, v22
	s_wait_alu 0xfffd
	v_add_co_ci_u32_e32 v23, vcc_lo, v1, v23, vcc_lo
	v_add_co_u32 v24, vcc_lo, v0, v24
	s_wait_alu 0xfffd
	v_add_co_ci_u32_e32 v25, vcc_lo, v1, v25, vcc_lo
	v_cmp_eq_u32_e32 vcc_lo, 0x63, v104
	s_wait_dscnt 0x2
	global_store_b128 v[20:21], v[2:5], off
	s_wait_dscnt 0x1
	global_store_b128 v[18:19], v[6:9], off
	s_wait_dscnt 0x0
	s_clause 0x1
	global_store_b128 v[22:23], v[10:13], off
	global_store_b128 v[24:25], v[14:17], off
	s_and_b32 exec_lo, exec_lo, vcc_lo
	s_cbranch_execz .LBB0_20
; %bb.19:
	v_mov_b32_e32 v2, 0
	ds_load_b128 v[2:5], v2 offset:48000
	s_wait_dscnt 0x0
	global_store_b128 v[0:1], v[2:5], off offset:48000
.LBB0_20:
	s_nop 0
	s_sendmsg sendmsg(MSG_DEALLOC_VGPRS)
	s_endpgm
	.section	.rodata,"a",@progbits
	.p2align	6, 0x0
	.amdhsa_kernel fft_rtc_back_len3000_factors_10_3_10_10_wgs_100_tpt_100_halfLds_dp_op_CI_CI_unitstride_sbrr_R2C_dirReg
		.amdhsa_group_segment_fixed_size 0
		.amdhsa_private_segment_fixed_size 0
		.amdhsa_kernarg_size 104
		.amdhsa_user_sgpr_count 2
		.amdhsa_user_sgpr_dispatch_ptr 0
		.amdhsa_user_sgpr_queue_ptr 0
		.amdhsa_user_sgpr_kernarg_segment_ptr 1
		.amdhsa_user_sgpr_dispatch_id 0
		.amdhsa_user_sgpr_private_segment_size 0
		.amdhsa_wavefront_size32 1
		.amdhsa_uses_dynamic_stack 0
		.amdhsa_enable_private_segment 0
		.amdhsa_system_sgpr_workgroup_id_x 1
		.amdhsa_system_sgpr_workgroup_id_y 0
		.amdhsa_system_sgpr_workgroup_id_z 0
		.amdhsa_system_sgpr_workgroup_info 0
		.amdhsa_system_vgpr_workitem_id 0
		.amdhsa_next_free_vgpr 249
		.amdhsa_next_free_sgpr 39
		.amdhsa_reserve_vcc 1
		.amdhsa_float_round_mode_32 0
		.amdhsa_float_round_mode_16_64 0
		.amdhsa_float_denorm_mode_32 3
		.amdhsa_float_denorm_mode_16_64 3
		.amdhsa_fp16_overflow 0
		.amdhsa_workgroup_processor_mode 1
		.amdhsa_memory_ordered 1
		.amdhsa_forward_progress 0
		.amdhsa_round_robin_scheduling 0
		.amdhsa_exception_fp_ieee_invalid_op 0
		.amdhsa_exception_fp_denorm_src 0
		.amdhsa_exception_fp_ieee_div_zero 0
		.amdhsa_exception_fp_ieee_overflow 0
		.amdhsa_exception_fp_ieee_underflow 0
		.amdhsa_exception_fp_ieee_inexact 0
		.amdhsa_exception_int_div_zero 0
	.end_amdhsa_kernel
	.text
.Lfunc_end0:
	.size	fft_rtc_back_len3000_factors_10_3_10_10_wgs_100_tpt_100_halfLds_dp_op_CI_CI_unitstride_sbrr_R2C_dirReg, .Lfunc_end0-fft_rtc_back_len3000_factors_10_3_10_10_wgs_100_tpt_100_halfLds_dp_op_CI_CI_unitstride_sbrr_R2C_dirReg
                                        ; -- End function
	.section	.AMDGPU.csdata,"",@progbits
; Kernel info:
; codeLenInByte = 23656
; NumSgprs: 41
; NumVgprs: 249
; ScratchSize: 0
; MemoryBound: 0
; FloatMode: 240
; IeeeMode: 1
; LDSByteSize: 0 bytes/workgroup (compile time only)
; SGPRBlocks: 5
; VGPRBlocks: 31
; NumSGPRsForWavesPerEU: 41
; NumVGPRsForWavesPerEU: 249
; Occupancy: 5
; WaveLimiterHint : 1
; COMPUTE_PGM_RSRC2:SCRATCH_EN: 0
; COMPUTE_PGM_RSRC2:USER_SGPR: 2
; COMPUTE_PGM_RSRC2:TRAP_HANDLER: 0
; COMPUTE_PGM_RSRC2:TGID_X_EN: 1
; COMPUTE_PGM_RSRC2:TGID_Y_EN: 0
; COMPUTE_PGM_RSRC2:TGID_Z_EN: 0
; COMPUTE_PGM_RSRC2:TIDIG_COMP_CNT: 0
	.text
	.p2alignl 7, 3214868480
	.fill 96, 4, 3214868480
	.type	__hip_cuid_34183fb3415b80dc,@object ; @__hip_cuid_34183fb3415b80dc
	.section	.bss,"aw",@nobits
	.globl	__hip_cuid_34183fb3415b80dc
__hip_cuid_34183fb3415b80dc:
	.byte	0                               ; 0x0
	.size	__hip_cuid_34183fb3415b80dc, 1

	.ident	"AMD clang version 19.0.0git (https://github.com/RadeonOpenCompute/llvm-project roc-6.4.0 25133 c7fe45cf4b819c5991fe208aaa96edf142730f1d)"
	.section	".note.GNU-stack","",@progbits
	.addrsig
	.addrsig_sym __hip_cuid_34183fb3415b80dc
	.amdgpu_metadata
---
amdhsa.kernels:
  - .args:
      - .actual_access:  read_only
        .address_space:  global
        .offset:         0
        .size:           8
        .value_kind:     global_buffer
      - .offset:         8
        .size:           8
        .value_kind:     by_value
      - .actual_access:  read_only
        .address_space:  global
        .offset:         16
        .size:           8
        .value_kind:     global_buffer
      - .actual_access:  read_only
        .address_space:  global
        .offset:         24
        .size:           8
        .value_kind:     global_buffer
      - .actual_access:  read_only
        .address_space:  global
        .offset:         32
        .size:           8
        .value_kind:     global_buffer
      - .offset:         40
        .size:           8
        .value_kind:     by_value
      - .actual_access:  read_only
        .address_space:  global
        .offset:         48
        .size:           8
        .value_kind:     global_buffer
      - .actual_access:  read_only
        .address_space:  global
        .offset:         56
        .size:           8
        .value_kind:     global_buffer
      - .offset:         64
        .size:           4
        .value_kind:     by_value
      - .actual_access:  read_only
        .address_space:  global
        .offset:         72
        .size:           8
        .value_kind:     global_buffer
      - .actual_access:  read_only
        .address_space:  global
        .offset:         80
        .size:           8
        .value_kind:     global_buffer
      - .actual_access:  read_only
        .address_space:  global
        .offset:         88
        .size:           8
        .value_kind:     global_buffer
      - .actual_access:  write_only
        .address_space:  global
        .offset:         96
        .size:           8
        .value_kind:     global_buffer
    .group_segment_fixed_size: 0
    .kernarg_segment_align: 8
    .kernarg_segment_size: 104
    .language:       OpenCL C
    .language_version:
      - 2
      - 0
    .max_flat_workgroup_size: 100
    .name:           fft_rtc_back_len3000_factors_10_3_10_10_wgs_100_tpt_100_halfLds_dp_op_CI_CI_unitstride_sbrr_R2C_dirReg
    .private_segment_fixed_size: 0
    .sgpr_count:     41
    .sgpr_spill_count: 0
    .symbol:         fft_rtc_back_len3000_factors_10_3_10_10_wgs_100_tpt_100_halfLds_dp_op_CI_CI_unitstride_sbrr_R2C_dirReg.kd
    .uniform_work_group_size: 1
    .uses_dynamic_stack: false
    .vgpr_count:     249
    .vgpr_spill_count: 0
    .wavefront_size: 32
    .workgroup_processor_mode: 1
amdhsa.target:   amdgcn-amd-amdhsa--gfx1201
amdhsa.version:
  - 1
  - 2
...

	.end_amdgpu_metadata
